;; amdgpu-corpus repo=ROCm/rocFFT kind=compiled arch=gfx1030 opt=O3
	.text
	.amdgcn_target "amdgcn-amd-amdhsa--gfx1030"
	.amdhsa_code_object_version 6
	.protected	fft_rtc_back_len924_factors_2_2_3_7_11_wgs_44_tpt_44_halfLds_sp_ip_CI_sbrr_dirReg ; -- Begin function fft_rtc_back_len924_factors_2_2_3_7_11_wgs_44_tpt_44_halfLds_sp_ip_CI_sbrr_dirReg
	.globl	fft_rtc_back_len924_factors_2_2_3_7_11_wgs_44_tpt_44_halfLds_sp_ip_CI_sbrr_dirReg
	.p2align	8
	.type	fft_rtc_back_len924_factors_2_2_3_7_11_wgs_44_tpt_44_halfLds_sp_ip_CI_sbrr_dirReg,@function
fft_rtc_back_len924_factors_2_2_3_7_11_wgs_44_tpt_44_halfLds_sp_ip_CI_sbrr_dirReg: ; @fft_rtc_back_len924_factors_2_2_3_7_11_wgs_44_tpt_44_halfLds_sp_ip_CI_sbrr_dirReg
; %bb.0:
	s_clause 0x2
	s_load_dwordx2 s[14:15], s[4:5], 0x18
	s_load_dwordx4 s[8:11], s[4:5], 0x0
	s_load_dwordx2 s[12:13], s[4:5], 0x50
	v_mul_u32_u24_e32 v1, 0x5d2, v0
	v_mov_b32_e32 v3, 0
	v_add_nc_u32_sdwa v5, s6, v1 dst_sel:DWORD dst_unused:UNUSED_PAD src0_sel:DWORD src1_sel:WORD_1
	v_mov_b32_e32 v1, 0
	v_mov_b32_e32 v6, v3
	v_mov_b32_e32 v2, 0
	s_waitcnt lgkmcnt(0)
	s_load_dwordx2 s[2:3], s[14:15], 0x0
	v_cmp_lt_u64_e64 s0, s[10:11], 2
	s_and_b32 vcc_lo, exec_lo, s0
	s_cbranch_vccnz .LBB0_8
; %bb.1:
	s_load_dwordx2 s[0:1], s[4:5], 0x10
	v_mov_b32_e32 v1, 0
	s_add_u32 s6, s14, 8
	v_mov_b32_e32 v2, 0
	s_addc_u32 s7, s15, 0
	s_mov_b64 s[18:19], 1
	s_waitcnt lgkmcnt(0)
	s_add_u32 s16, s0, 8
	s_addc_u32 s17, s1, 0
.LBB0_2:                                ; =>This Inner Loop Header: Depth=1
	s_load_dwordx2 s[20:21], s[16:17], 0x0
                                        ; implicit-def: $vgpr7_vgpr8
	s_mov_b32 s0, exec_lo
	s_waitcnt lgkmcnt(0)
	v_or_b32_e32 v4, s21, v6
	v_cmpx_ne_u64_e32 0, v[3:4]
	s_xor_b32 s1, exec_lo, s0
	s_cbranch_execz .LBB0_4
; %bb.3:                                ;   in Loop: Header=BB0_2 Depth=1
	v_cvt_f32_u32_e32 v4, s20
	v_cvt_f32_u32_e32 v7, s21
	s_sub_u32 s0, 0, s20
	s_subb_u32 s22, 0, s21
	v_fmac_f32_e32 v4, 0x4f800000, v7
	v_rcp_f32_e32 v4, v4
	v_mul_f32_e32 v4, 0x5f7ffffc, v4
	v_mul_f32_e32 v7, 0x2f800000, v4
	v_trunc_f32_e32 v7, v7
	v_fmac_f32_e32 v4, 0xcf800000, v7
	v_cvt_u32_f32_e32 v7, v7
	v_cvt_u32_f32_e32 v4, v4
	v_mul_lo_u32 v8, s0, v7
	v_mul_hi_u32 v9, s0, v4
	v_mul_lo_u32 v10, s22, v4
	v_add_nc_u32_e32 v8, v9, v8
	v_mul_lo_u32 v9, s0, v4
	v_add_nc_u32_e32 v8, v8, v10
	v_mul_hi_u32 v10, v4, v9
	v_mul_lo_u32 v11, v4, v8
	v_mul_hi_u32 v12, v4, v8
	v_mul_hi_u32 v13, v7, v9
	v_mul_lo_u32 v9, v7, v9
	v_mul_hi_u32 v14, v7, v8
	v_mul_lo_u32 v8, v7, v8
	v_add_co_u32 v10, vcc_lo, v10, v11
	v_add_co_ci_u32_e32 v11, vcc_lo, 0, v12, vcc_lo
	v_add_co_u32 v9, vcc_lo, v10, v9
	v_add_co_ci_u32_e32 v9, vcc_lo, v11, v13, vcc_lo
	v_add_co_ci_u32_e32 v10, vcc_lo, 0, v14, vcc_lo
	v_add_co_u32 v8, vcc_lo, v9, v8
	v_add_co_ci_u32_e32 v9, vcc_lo, 0, v10, vcc_lo
	v_add_co_u32 v4, vcc_lo, v4, v8
	v_add_co_ci_u32_e32 v7, vcc_lo, v7, v9, vcc_lo
	v_mul_hi_u32 v8, s0, v4
	v_mul_lo_u32 v10, s22, v4
	v_mul_lo_u32 v9, s0, v7
	v_add_nc_u32_e32 v8, v8, v9
	v_mul_lo_u32 v9, s0, v4
	v_add_nc_u32_e32 v8, v8, v10
	v_mul_hi_u32 v10, v4, v9
	v_mul_lo_u32 v11, v4, v8
	v_mul_hi_u32 v12, v4, v8
	v_mul_hi_u32 v13, v7, v9
	v_mul_lo_u32 v9, v7, v9
	v_mul_hi_u32 v14, v7, v8
	v_mul_lo_u32 v8, v7, v8
	v_add_co_u32 v10, vcc_lo, v10, v11
	v_add_co_ci_u32_e32 v11, vcc_lo, 0, v12, vcc_lo
	v_add_co_u32 v9, vcc_lo, v10, v9
	v_add_co_ci_u32_e32 v9, vcc_lo, v11, v13, vcc_lo
	v_add_co_ci_u32_e32 v10, vcc_lo, 0, v14, vcc_lo
	v_add_co_u32 v8, vcc_lo, v9, v8
	v_add_co_ci_u32_e32 v9, vcc_lo, 0, v10, vcc_lo
	v_add_co_u32 v4, vcc_lo, v4, v8
	v_add_co_ci_u32_e32 v11, vcc_lo, v7, v9, vcc_lo
	v_mul_hi_u32 v13, v5, v4
	v_mad_u64_u32 v[9:10], null, v6, v4, 0
	v_mad_u64_u32 v[7:8], null, v5, v11, 0
	;; [unrolled: 1-line block ×3, first 2 shown]
	v_add_co_u32 v4, vcc_lo, v13, v7
	v_add_co_ci_u32_e32 v7, vcc_lo, 0, v8, vcc_lo
	v_add_co_u32 v4, vcc_lo, v4, v9
	v_add_co_ci_u32_e32 v4, vcc_lo, v7, v10, vcc_lo
	v_add_co_ci_u32_e32 v7, vcc_lo, 0, v12, vcc_lo
	v_add_co_u32 v4, vcc_lo, v4, v11
	v_add_co_ci_u32_e32 v9, vcc_lo, 0, v7, vcc_lo
	v_mul_lo_u32 v10, s21, v4
	v_mad_u64_u32 v[7:8], null, s20, v4, 0
	v_mul_lo_u32 v11, s20, v9
	v_sub_co_u32 v7, vcc_lo, v5, v7
	v_add3_u32 v8, v8, v11, v10
	v_sub_nc_u32_e32 v10, v6, v8
	v_subrev_co_ci_u32_e64 v10, s0, s21, v10, vcc_lo
	v_add_co_u32 v11, s0, v4, 2
	v_add_co_ci_u32_e64 v12, s0, 0, v9, s0
	v_sub_co_u32 v13, s0, v7, s20
	v_sub_co_ci_u32_e32 v8, vcc_lo, v6, v8, vcc_lo
	v_subrev_co_ci_u32_e64 v10, s0, 0, v10, s0
	v_cmp_le_u32_e32 vcc_lo, s20, v13
	v_cmp_eq_u32_e64 s0, s21, v8
	v_cndmask_b32_e64 v13, 0, -1, vcc_lo
	v_cmp_le_u32_e32 vcc_lo, s21, v10
	v_cndmask_b32_e64 v14, 0, -1, vcc_lo
	v_cmp_le_u32_e32 vcc_lo, s20, v7
	;; [unrolled: 2-line block ×3, first 2 shown]
	v_cndmask_b32_e64 v15, 0, -1, vcc_lo
	v_cmp_eq_u32_e32 vcc_lo, s21, v10
	v_cndmask_b32_e64 v7, v15, v7, s0
	v_cndmask_b32_e32 v10, v14, v13, vcc_lo
	v_add_co_u32 v13, vcc_lo, v4, 1
	v_add_co_ci_u32_e32 v14, vcc_lo, 0, v9, vcc_lo
	v_cmp_ne_u32_e32 vcc_lo, 0, v10
	v_cndmask_b32_e32 v8, v14, v12, vcc_lo
	v_cndmask_b32_e32 v10, v13, v11, vcc_lo
	v_cmp_ne_u32_e32 vcc_lo, 0, v7
	v_cndmask_b32_e32 v8, v9, v8, vcc_lo
	v_cndmask_b32_e32 v7, v4, v10, vcc_lo
.LBB0_4:                                ;   in Loop: Header=BB0_2 Depth=1
	s_andn2_saveexec_b32 s0, s1
	s_cbranch_execz .LBB0_6
; %bb.5:                                ;   in Loop: Header=BB0_2 Depth=1
	v_cvt_f32_u32_e32 v4, s20
	s_sub_i32 s1, 0, s20
	v_rcp_iflag_f32_e32 v4, v4
	v_mul_f32_e32 v4, 0x4f7ffffe, v4
	v_cvt_u32_f32_e32 v4, v4
	v_mul_lo_u32 v7, s1, v4
	v_mul_hi_u32 v7, v4, v7
	v_add_nc_u32_e32 v4, v4, v7
	v_mul_hi_u32 v4, v5, v4
	v_mul_lo_u32 v7, v4, s20
	v_add_nc_u32_e32 v8, 1, v4
	v_sub_nc_u32_e32 v7, v5, v7
	v_subrev_nc_u32_e32 v9, s20, v7
	v_cmp_le_u32_e32 vcc_lo, s20, v7
	v_cndmask_b32_e32 v7, v7, v9, vcc_lo
	v_cndmask_b32_e32 v4, v4, v8, vcc_lo
	v_cmp_le_u32_e32 vcc_lo, s20, v7
	v_add_nc_u32_e32 v8, 1, v4
	v_cndmask_b32_e32 v7, v4, v8, vcc_lo
	v_mov_b32_e32 v8, v3
.LBB0_6:                                ;   in Loop: Header=BB0_2 Depth=1
	s_or_b32 exec_lo, exec_lo, s0
	s_load_dwordx2 s[0:1], s[6:7], 0x0
	v_mul_lo_u32 v4, v8, s20
	v_mul_lo_u32 v11, v7, s21
	v_mad_u64_u32 v[9:10], null, v7, s20, 0
	s_add_u32 s18, s18, 1
	s_addc_u32 s19, s19, 0
	s_add_u32 s6, s6, 8
	s_addc_u32 s7, s7, 0
	;; [unrolled: 2-line block ×3, first 2 shown]
	v_add3_u32 v4, v10, v11, v4
	v_sub_co_u32 v5, vcc_lo, v5, v9
	v_sub_co_ci_u32_e32 v4, vcc_lo, v6, v4, vcc_lo
	s_waitcnt lgkmcnt(0)
	v_mul_lo_u32 v6, s1, v5
	v_mul_lo_u32 v4, s0, v4
	v_mad_u64_u32 v[1:2], null, s0, v5, v[1:2]
	v_cmp_ge_u64_e64 s0, s[18:19], s[10:11]
	s_and_b32 vcc_lo, exec_lo, s0
	v_add3_u32 v2, v6, v2, v4
	s_cbranch_vccnz .LBB0_9
; %bb.7:                                ;   in Loop: Header=BB0_2 Depth=1
	v_mov_b32_e32 v5, v7
	v_mov_b32_e32 v6, v8
	s_branch .LBB0_2
.LBB0_8:
	v_mov_b32_e32 v8, v6
	v_mov_b32_e32 v7, v5
.LBB0_9:
	s_lshl_b64 s[0:1], s[10:11], 3
	v_mul_hi_u32 v3, 0x5d1745e, v0
	s_add_u32 s0, s14, s0
	s_addc_u32 s1, s15, s1
	s_load_dwordx2 s[4:5], s[4:5], 0x20
	s_load_dwordx2 s[0:1], s[0:1], 0x0
                                        ; implicit-def: $vgpr67
	v_mul_u32_u24_e32 v3, 44, v3
	v_sub_nc_u32_e32 v66, v0, v3
	v_add_nc_u32_e32 v58, 0x58, v66
	v_add_nc_u32_e32 v64, 0x84, v66
	;; [unrolled: 1-line block ×5, first 2 shown]
	s_waitcnt lgkmcnt(0)
	v_cmp_gt_u64_e32 vcc_lo, s[4:5], v[7:8]
	v_mul_lo_u32 v3, s0, v8
	v_mul_lo_u32 v4, s1, v7
	v_mad_u64_u32 v[0:1], null, s0, v7, v[1:2]
	v_cmp_le_u64_e64 s0, s[4:5], v[7:8]
	v_add_nc_u32_e32 v65, 0x134, v66
	v_add_nc_u32_e32 v68, 0x160, v66
	;; [unrolled: 1-line block ×3, first 2 shown]
                                        ; implicit-def: $sgpr4
	v_add3_u32 v1, v4, v1, v3
	s_and_saveexec_b32 s1, s0
	s_xor_b32 s0, exec_lo, s1
; %bb.10:
	v_add_nc_u32_e32 v67, 44, v66
	v_add_nc_u32_e32 v58, 0x58, v66
	;; [unrolled: 1-line block ×9, first 2 shown]
	s_mov_b32 s4, 0
; %bb.11:
	s_or_saveexec_b32 s1, s0
	v_lshlrev_b64 v[24:25], 3, v[0:1]
	v_mov_b32_e32 v9, s4
	v_mov_b32_e32 v8, s4
                                        ; implicit-def: $vgpr3
                                        ; implicit-def: $vgpr7
                                        ; implicit-def: $vgpr1
                                        ; implicit-def: $vgpr5
                                        ; implicit-def: $vgpr11
                                        ; implicit-def: $vgpr17
                                        ; implicit-def: $vgpr13
                                        ; implicit-def: $vgpr19
                                        ; implicit-def: $vgpr15
                                        ; implicit-def: $vgpr27
                                        ; implicit-def: $vgpr21
                                        ; implicit-def: $vgpr29
                                        ; implicit-def: $vgpr31
                                        ; implicit-def: $vgpr39
                                        ; implicit-def: $vgpr33
                                        ; implicit-def: $vgpr41
                                        ; implicit-def: $vgpr35
                                        ; implicit-def: $vgpr37
                                        ; implicit-def: $vgpr47
                                        ; implicit-def: $vgpr45
                                        ; implicit-def: $vgpr43
	s_xor_b32 exec_lo, exec_lo, s1
	s_cbranch_execz .LBB0_15
; %bb.12:
	v_add_nc_u32_e32 v10, 0x1ce, v66
	v_add_nc_u32_e32 v67, 44, v66
	v_mad_u64_u32 v[0:1], null, s2, v66, 0
	v_add_nc_u32_e32 v11, 0x1fa, v66
	v_mad_u64_u32 v[2:3], null, s2, v10, 0
	v_mad_u64_u32 v[4:5], null, s2, v67, 0
	;; [unrolled: 1-line block ×3, first 2 shown]
	v_add_co_u32 v22, s0, s12, v24
	v_mad_u64_u32 v[8:9], null, s3, v66, v[1:2]
	v_mad_u64_u32 v[9:10], null, s3, v10, v[3:4]
	v_add_co_ci_u32_e64 v23, s0, s13, v25, s0
	v_add_nc_u32_e32 v18, 0x226, v66
	v_mad_u64_u32 v[16:17], null, s2, v64, 0
	v_mov_b32_e32 v1, v8
	v_mov_b32_e32 v3, v9
	v_mad_u64_u32 v[8:9], null, s3, v67, v[5:6]
	v_add_nc_u32_e32 v21, 0x252, v66
	v_lshlrev_b64 v[0:1], 3, v[0:1]
	v_lshlrev_b64 v[2:3], 3, v[2:3]
	v_add_nc_u32_e32 v28, 0x27e, v66
	v_add_nc_u32_e32 v33, 0x2aa, v66
	v_mad_u64_u32 v[45:46], null, s2, v68, 0
	v_mad_u64_u32 v[9:10], null, s3, v11, v[7:8]
	;; [unrolled: 1-line block ×3, first 2 shown]
	v_add_co_u32 v0, s0, v22, v0
	v_mov_b32_e32 v5, v8
	v_add_co_ci_u32_e64 v1, s0, v23, v1, s0
	v_add_co_u32 v8, s0, v22, v2
	v_mov_b32_e32 v7, v9
	v_add_co_ci_u32_e64 v9, s0, v23, v3, s0
	v_lshlrev_b64 v[3:4], 3, v[4:5]
	v_mov_b32_e32 v2, v11
	v_lshlrev_b64 v[5:6], 3, v[6:7]
	v_mad_u64_u32 v[26:27], null, s2, v28, 0
	v_mad_u64_u32 v[51:52], null, s2, v69, 0
	;; [unrolled: 1-line block ×4, first 2 shown]
	v_add_co_u32 v14, s0, v22, v3
	v_add_co_ci_u32_e64 v15, s0, v23, v4, s0
	v_add_co_u32 v4, s0, v22, v5
	v_mov_b32_e32 v2, v13
	v_add_co_ci_u32_e64 v5, s0, v23, v6, s0
	s_mov_b32 s4, exec_lo
	v_mad_u64_u32 v[18:19], null, s3, v18, v[2:3]
	s_clause 0x3
	global_load_dwordx2 v[2:3], v[0:1], off
	global_load_dwordx2 v[6:7], v[8:9], off
	;; [unrolled: 1-line block ×4, first 2 shown]
	v_lshlrev_b64 v[9:10], 3, v[10:11]
	v_mov_b32_e32 v8, v17
	v_mad_u64_u32 v[14:15], null, s2, v21, 0
	v_mov_b32_e32 v13, v18
	v_mad_u64_u32 v[19:20], null, s3, v64, v[8:9]
	v_add_co_u32 v8, s0, v22, v9
	v_add_co_ci_u32_e64 v9, s0, v23, v10, s0
	v_lshlrev_b64 v[10:11], 3, v[12:13]
	v_mov_b32_e32 v12, v15
	v_mov_b32_e32 v17, v19
	v_mad_u64_u32 v[18:19], null, s2, v61, 0
	v_mad_u64_u32 v[12:13], null, s3, v21, v[12:13]
	v_add_co_u32 v20, s0, v22, v10
	v_lshlrev_b64 v[16:17], 3, v[16:17]
	v_mov_b32_e32 v10, v19
	v_add_co_ci_u32_e64 v21, s0, v23, v11, s0
	v_mov_b32_e32 v15, v12
	v_mad_u64_u32 v[10:11], null, s3, v61, v[10:11]
	v_add_co_u32 v12, s0, v22, v16
	v_add_co_ci_u32_e64 v13, s0, v23, v17, s0
	v_mad_u64_u32 v[16:17], null, s2, v60, 0
	v_mov_b32_e32 v11, v27
	v_mov_b32_e32 v19, v10
	v_lshlrev_b64 v[14:15], 3, v[14:15]
	v_mad_u64_u32 v[10:11], null, s3, v28, v[11:12]
	v_mov_b32_e32 v11, v17
	v_lshlrev_b64 v[17:18], 3, v[18:19]
	v_mad_u64_u32 v[28:29], null, s2, v33, 0
	v_add_co_u32 v14, s0, v22, v14
	v_add_co_ci_u32_e64 v15, s0, v23, v15, s0
	v_mad_u64_u32 v[30:31], null, s3, v60, v[11:12]
	v_add_co_u32 v31, s0, v22, v17
	v_mov_b32_e32 v27, v10
	v_add_co_ci_u32_e64 v32, s0, v23, v18, s0
	v_mov_b32_e32 v18, v29
	v_mov_b32_e32 v17, v30
	v_lshlrev_b64 v[10:11], 3, v[26:27]
	v_mad_u64_u32 v[26:27], null, s2, v59, 0
	v_mad_u64_u32 v[18:19], null, s3, v33, v[18:19]
	v_add_nc_u32_e32 v30, 0x2d6, v66
	v_add_co_u32 v33, s0, v22, v10
	v_add_co_ci_u32_e64 v34, s0, v23, v11, s0
	v_lshlrev_b64 v[10:11], 3, v[16:17]
	v_mov_b32_e32 v29, v18
	v_mad_u64_u32 v[17:18], null, s2, v30, 0
	v_mov_b32_e32 v16, v27
	v_add_co_u32 v38, s0, v22, v10
	v_add_co_ci_u32_e64 v39, s0, v23, v11, s0
	v_mad_u64_u32 v[35:36], null, s3, v59, v[16:17]
	v_mad_u64_u32 v[36:37], null, s2, v65, 0
	v_mov_b32_e32 v10, v18
	v_lshlrev_b64 v[18:19], 3, v[28:29]
	v_mov_b32_e32 v27, v35
	v_add_nc_u32_e32 v35, 0x302, v66
	v_mad_u64_u32 v[10:11], null, s3, v30, v[10:11]
	v_mov_b32_e32 v11, v37
	v_add_co_u32 v40, s0, v22, v18
	v_mad_u64_u32 v[28:29], null, s2, v35, 0
	v_mad_u64_u32 v[42:43], null, s3, v65, v[11:12]
	v_mov_b32_e32 v18, v10
	v_lshlrev_b64 v[26:27], 3, v[26:27]
	v_add_co_ci_u32_e64 v41, s0, v23, v19, s0
	v_mov_b32_e32 v10, v29
	v_lshlrev_b64 v[16:17], 3, v[17:18]
	v_mov_b32_e32 v37, v42
	v_add_co_u32 v43, s0, v22, v26
	v_mad_u64_u32 v[10:11], null, s3, v35, v[10:11]
	v_add_co_ci_u32_e64 v44, s0, v23, v27, s0
	v_add_co_u32 v47, s0, v22, v16
	v_add_nc_u32_e32 v18, 0x32e, v66
	v_add_co_ci_u32_e64 v48, s0, v23, v17, s0
	v_lshlrev_b64 v[16:17], 3, v[36:37]
	v_mov_b32_e32 v29, v10
	v_mov_b32_e32 v10, v46
	v_mad_u64_u32 v[35:36], null, s2, v18, 0
	v_add_nc_u32_e32 v37, 0x35a, v66
	v_add_co_u32 v49, s0, v22, v16
	v_add_co_ci_u32_e64 v50, s0, v23, v17, s0
	v_lshlrev_b64 v[16:17], 3, v[28:29]
	v_mad_u64_u32 v[10:11], null, s3, v68, v[10:11]
	v_mov_b32_e32 v11, v36
	v_mad_u64_u32 v[55:56], null, s2, v37, 0
	v_add_co_u32 v53, s0, v22, v16
	v_add_co_ci_u32_e64 v54, s0, v23, v17, s0
	v_mov_b32_e32 v46, v10
	v_mad_u64_u32 v[26:27], null, s3, v18, v[11:12]
	s_clause 0x3
	global_load_dwordx2 v[10:11], v[8:9], off
	global_load_dwordx2 v[16:17], v[20:21], off
	;; [unrolled: 1-line block ×4, first 2 shown]
	v_mov_b32_e32 v27, v52
	v_mad_u64_u32 v[8:9], null, s3, v69, v[27:28]
	v_mov_b32_e32 v9, v56
	v_mov_b32_e32 v36, v26
	s_clause 0x3
	global_load_dwordx2 v[14:15], v[31:32], off
	global_load_dwordx2 v[26:27], v[33:34], off
	global_load_dwordx2 v[20:21], v[38:39], off
	global_load_dwordx2 v[28:29], v[40:41], off
	v_lshlrev_b64 v[30:31], 3, v[45:46]
	v_mov_b32_e32 v52, v8
	v_add_co_u32 v8, s0, v22, v30
	s_waitcnt vmcnt(7)
	v_mad_u64_u32 v[32:33], null, s3, v37, v[9:10]
	v_lshlrev_b64 v[33:34], 3, v[35:36]
	v_add_co_ci_u32_e64 v9, s0, v23, v31, s0
	v_lshlrev_b64 v[30:31], 3, v[51:52]
	v_mov_b32_e32 v56, v32
	v_add_co_u32 v36, s0, v22, v33
	v_add_co_ci_u32_e64 v37, s0, v23, v34, s0
	v_lshlrev_b64 v[32:33], 3, v[55:56]
	v_add_co_u32 v45, s0, v22, v30
	v_add_co_ci_u32_e64 v46, s0, v23, v31, s0
	v_add_co_u32 v51, s0, v22, v32
	v_add_co_ci_u32_e64 v52, s0, v23, v33, s0
	s_clause 0x7
	global_load_dwordx2 v[30:31], v[43:44], off
	global_load_dwordx2 v[38:39], v[47:48], off
	;; [unrolled: 1-line block ×8, first 2 shown]
	v_mov_b32_e32 v8, 0
	v_mov_b32_e32 v9, 0
                                        ; implicit-def: $vgpr46
	v_cmpx_gt_u32_e32 22, v66
	s_cbranch_execz .LBB0_14
; %bb.13:
	v_add_nc_u32_e32 v48, 0x1b8, v66
	v_add_nc_u32_e32 v50, 0x386, v66
	v_mad_u64_u32 v[8:9], null, s2, v48, 0
	v_mad_u64_u32 v[46:47], null, s2, v50, 0
	;; [unrolled: 1-line block ×4, first 2 shown]
	v_mov_b32_e32 v9, v48
	v_lshlrev_b64 v[8:9], 3, v[8:9]
	v_mov_b32_e32 v47, v49
	v_add_co_u32 v8, s0, v22, v8
	v_lshlrev_b64 v[46:47], 3, v[46:47]
	v_add_co_ci_u32_e64 v9, s0, v23, v9, s0
	v_add_co_u32 v22, s0, v22, v46
	v_add_co_ci_u32_e64 v23, s0, v23, v47, s0
	s_clause 0x1
	global_load_dwordx2 v[8:9], v[8:9], off
	global_load_dwordx2 v[46:47], v[22:23], off
.LBB0_14:
	s_or_b32 exec_lo, exec_lo, s4
.LBB0_15:
	s_or_b32 exec_lo, exec_lo, s1
	v_sub_f32_e32 v23, v2, v6
	v_sub_f32_e32 v49, v0, v4
	s_waitcnt vmcnt(14)
	v_sub_f32_e32 v51, v10, v16
	v_lshl_add_u32 v70, v66, 3, 0
	v_lshl_add_u32 v73, v67, 3, 0
	v_fma_f32 v22, v2, 2.0, -v23
	v_fma_f32 v48, v0, 2.0, -v49
	v_lshl_add_u32 v4, v58, 3, 0
	v_fma_f32 v50, v10, 2.0, -v51
	s_waitcnt vmcnt(12)
	v_sub_f32_e32 v52, v12, v18
	ds_write_b64 v70, v[22:23]
	ds_write_b64 v73, v[48:49]
	s_waitcnt vmcnt(10)
	v_sub_f32_e32 v23, v14, v26
	s_waitcnt vmcnt(8)
	v_sub_f32_e32 v49, v20, v28
	ds_write_b64 v4, v[50:51]
	v_fma_f32 v51, v12, 2.0, -v52
	v_lshl_add_u32 v12, v64, 3, 0
	v_fma_f32 v22, v14, 2.0, -v23
	v_lshl_add_u32 v6, v61, 3, 0
	;; [unrolled: 2-line block ×3, first 2 shown]
	s_waitcnt vmcnt(6)
	v_sub_f32_e32 v50, v30, v38
	ds_write_b64 v12, v[51:52]
	ds_write_b64 v6, v[22:23]
	s_waitcnt vmcnt(0)
	v_sub_f32_e32 v56, v36, v44
	v_sub_f32_e32 v23, v8, v46
	v_add_nc_u32_e32 v14, 0x1b8, v66
	v_sub_f32_e32 v52, v32, v40
	v_sub_f32_e32 v54, v34, v42
	ds_write_b64 v10, v[48:49]
	v_fma_f32 v49, v30, 2.0, -v50
	v_lshl_add_u32 v16, v59, 3, 0
	v_lshl_add_u32 v71, v65, 3, 0
	;; [unrolled: 1-line block ×3, first 2 shown]
	v_fma_f32 v55, v36, 2.0, -v56
	v_lshl_add_u32 v36, v69, 3, 0
	v_fma_f32 v22, v8, 2.0, -v23
	v_cmp_gt_u32_e64 s0, 22, v66
	v_lshl_add_u32 v2, v14, 3, 0
	v_fma_f32 v51, v32, 2.0, -v52
	v_fma_f32 v53, v34, 2.0, -v54
	ds_write_b64 v16, v[49:50]
	ds_write_b64 v71, v[51:52]
	;; [unrolled: 1-line block ×4, first 2 shown]
	s_and_saveexec_b32 s1, s0
	s_cbranch_execz .LBB0_17
; %bb.16:
	ds_write_b64 v2, v[22:23]
.LBB0_17:
	s_or_b32 exec_lo, exec_lo, s1
	v_lshl_add_u32 v62, v66, 2, 0
	v_lshlrev_b32_e32 v0, 2, v58
	v_lshlrev_b32_e32 v8, 2, v64
	;; [unrolled: 1-line block ×4, first 2 shown]
	v_add_nc_u32_e32 v18, 0x400, v62
	v_lshlrev_b32_e32 v78, 2, v68
	s_waitcnt lgkmcnt(0)
	s_barrier
	buffer_gl0_inv
	v_add_nc_u32_e32 v20, 0x800, v62
	ds_read2_b32 v[50:51], v18 offset0:206 offset1:250
	v_lshlrev_b32_e32 v75, 2, v60
	v_lshlrev_b32_e32 v76, 2, v59
	v_add_nc_u32_e32 v18, 0xa00, v62
	v_lshlrev_b32_e32 v79, 2, v69
	v_lshl_add_u32 v63, v67, 2, 0
	v_sub_nc_u32_e32 v28, v4, v0
	v_sub_nc_u32_e32 v30, v12, v8
	;; [unrolled: 1-line block ×5, first 2 shown]
	v_add_nc_u32_e32 v46, 0xc00, v62
	ds_read2_b32 v[48:49], v20 offset0:38 offset1:82
	ds_read2_b32 v[52:53], v20 offset0:126 offset1:170
	v_sub_nc_u32_e32 v20, v10, v75
	v_sub_nc_u32_e32 v34, v16, v76
	ds_read2_b32 v[54:55], v18 offset0:86 offset1:130
	v_sub_nc_u32_e32 v80, v36, v79
	ds_read_b32 v18, v62
	ds_read_b32 v26, v63
	;; [unrolled: 1-line block ×8, first 2 shown]
	ds_read2_b32 v[56:57], v46 offset0:46 offset1:90
	ds_read_b32 v44, v44
	ds_read_b32 v46, v80
	s_and_saveexec_b32 s1, s0
	s_cbranch_execz .LBB0_19
; %bb.18:
	ds_read_b32 v22, v62 offset:1760
	ds_read_b32 v23, v62 offset:3608
.LBB0_19:
	s_or_b32 exec_lo, exec_lo, s1
	v_sub_f32_e32 v82, v1, v5
	v_sub_f32_e32 v80, v3, v7
	;; [unrolled: 1-line block ×5, first 2 shown]
	v_fma_f32 v81, v1, 2.0, -v82
	v_sub_f32_e32 v1, v9, v47
	v_sub_nc_u32_e32 v20, 0, v0
	v_sub_nc_u32_e32 v34, 0, v8
	;; [unrolled: 1-line block ×8, first 2 shown]
	v_fma_f32 v79, v3, 2.0, -v80
	v_sub_f32_e32 v90, v21, v29
	v_sub_f32_e32 v92, v31, v39
	;; [unrolled: 1-line block ×5, first 2 shown]
	v_fma_f32 v0, v9, 2.0, -v1
	v_fma_f32 v83, v11, 2.0, -v84
	;; [unrolled: 1-line block ×9, first 2 shown]
	s_waitcnt lgkmcnt(0)
	s_barrier
	buffer_gl0_inv
	ds_write_b64 v70, v[79:80]
	ds_write_b64 v73, v[81:82]
	;; [unrolled: 1-line block ×10, first 2 shown]
	s_and_saveexec_b32 s1, s0
	s_cbranch_execz .LBB0_21
; %bb.20:
	ds_write_b64 v2, v[0:1]
.LBB0_21:
	s_or_b32 exec_lo, exec_lo, s1
	v_add_nc_u32_e32 v2, 0x400, v62
	v_add_nc_u32_e32 v9, 0x800, v62
	;; [unrolled: 1-line block ×8, first 2 shown]
	s_waitcnt lgkmcnt(0)
	s_barrier
	buffer_gl0_inv
	ds_read2_b32 v[2:3], v2 offset0:206 offset1:250
	ds_read2_b32 v[4:5], v9 offset0:38 offset1:82
	;; [unrolled: 1-line block ×3, first 2 shown]
	v_add_nc_u32_e32 v35, v16, v7
	ds_read2_b32 v[6:7], v11 offset0:86 offset1:130
	v_add_nc_u32_e32 v16, v71, v77
	v_add_nc_u32_e32 v12, v72, v76
	;; [unrolled: 1-line block ×3, first 2 shown]
	ds_read_b32 v15, v62
	ds_read_b32 v37, v63
	;; [unrolled: 1-line block ×8, first 2 shown]
	ds_read2_b32 v[10:11], v10 offset0:46 offset1:90
	ds_read_b32 v29, v12
	ds_read_b32 v31, v36
	v_lshlrev_b32_e32 v21, 1, v66
	v_lshlrev_b32_e32 v45, 1, v67
	;; [unrolled: 1-line block ×10, first 2 shown]
	s_and_saveexec_b32 s1, s0
	s_cbranch_execz .LBB0_23
; %bb.22:
	ds_read_b32 v0, v62 offset:1760
	ds_read_b32 v1, v62 offset:3608
.LBB0_23:
	s_or_b32 exec_lo, exec_lo, s1
	v_and_b32_e32 v33, 1, v66
	v_lshlrev_b32_e32 v65, 1, v14
	v_lshlrev_b32_e32 v12, 3, v33
	v_and_or_b32 v14, 0x7c, v21, v33
	v_and_or_b32 v21, 0xfc, v45, v33
	;; [unrolled: 1-line block ×4, first 2 shown]
	global_load_dwordx2 v[12:13], v12, s[8:9]
	v_lshl_add_u32 v68, v14, 2, 0
	v_and_or_b32 v78, 0x3fc, v69, v33
	v_lshl_add_u32 v69, v21, 2, 0
	v_lshl_add_u32 v71, v45, 2, 0
	v_and_or_b32 v72, 0x1fc, v72, v33
	v_and_or_b32 v73, 0x1fc, v73, v33
	;; [unrolled: 1-line block ×5, first 2 shown]
	v_lshl_add_u32 v72, v72, 2, 0
	v_lshl_add_u32 v73, v73, 2, 0
	;; [unrolled: 1-line block ×7, first 2 shown]
	s_waitcnt vmcnt(0) lgkmcnt(0)
	s_barrier
	buffer_gl0_inv
	v_mul_f32_e32 v14, v2, v13
	v_mul_f32_e32 v21, v3, v13
	;; [unrolled: 1-line block ×11, first 2 shown]
	v_fmac_f32_e32 v14, v50, v12
	v_fmac_f32_e32 v21, v51, v12
	;; [unrolled: 1-line block ×11, first 2 shown]
	v_sub_f32_e32 v14, v18, v14
	v_sub_f32_e32 v87, v26, v21
	;; [unrolled: 1-line block ×11, first 2 shown]
	v_fma_f32 v18, v18, 2.0, -v14
	v_fma_f32 v26, v26, 2.0, -v87
	;; [unrolled: 1-line block ×10, first 2 shown]
	ds_write2_b32 v68, v18, v14 offset1:2
	ds_write2_b32 v69, v26, v87 offset1:2
	;; [unrolled: 1-line block ×10, first 2 shown]
	s_and_saveexec_b32 s1, s0
	s_cbranch_execz .LBB0_25
; %bb.24:
	v_and_or_b32 v14, 0x3fc, v65, v33
	v_fma_f32 v18, v22, 2.0, -v21
	v_lshl_add_u32 v14, v14, 2, 0
	ds_write2_b32 v14, v18, v21 offset1:2
.LBB0_25:
	s_or_b32 exec_lo, exec_lo, s1
	v_mul_f32_e32 v14, v50, v13
	v_mul_f32_e32 v18, v51, v13
	v_mul_f32_e32 v22, v48, v13
	v_mul_f32_e32 v26, v49, v13
	v_mul_f32_e32 v28, v52, v13
	v_fma_f32 v2, v2, v12, -v14
	v_mul_f32_e32 v14, v53, v13
	v_fma_f32 v3, v3, v12, -v18
	v_fma_f32 v4, v4, v12, -v22
	;; [unrolled: 1-line block ×5, first 2 shown]
	v_mul_f32_e32 v14, v54, v13
	v_mul_f32_e32 v18, v55, v13
	;; [unrolled: 1-line block ×4, first 2 shown]
	v_sub_f32_e32 v3, v37, v3
	v_mul_f32_e32 v13, v23, v13
	v_fma_f32 v6, v6, v12, -v14
	v_fma_f32 v7, v7, v12, -v18
	;; [unrolled: 1-line block ×4, first 2 shown]
	v_sub_f32_e32 v2, v15, v2
	v_sub_f32_e32 v18, v39, v4
	;; [unrolled: 1-line block ×4, first 2 shown]
	v_add_nc_u32_e32 v22, 0x800, v62
	v_fma_f32 v32, v37, 2.0, -v3
	v_add_nc_u32_e32 v37, 0x400, v62
	v_add_nc_u32_e32 v38, 0xc00, v62
	v_fma_f32 v1, v1, v12, -v13
	v_fma_f32 v30, v15, 2.0, -v2
	v_fma_f32 v46, v39, 2.0, -v18
	;; [unrolled: 1-line block ×4, first 2 shown]
	v_sub_f32_e32 v50, v17, v9
	v_sub_f32_e32 v51, v19, v6
	;; [unrolled: 1-line block ×5, first 2 shown]
	s_waitcnt lgkmcnt(0)
	s_barrier
	buffer_gl0_inv
	ds_read_b32 v39, v62
	ds_read_b32 v55, v16
	ds_read2_b32 v[14:15], v22 offset0:104 offset1:148
	ds_read2_b32 v[12:13], v37 offset0:96 offset1:140
	;; [unrolled: 1-line block ×6, first 2 shown]
	ds_read_b32 v44, v20
	ds_read_b32 v43, v34
	;; [unrolled: 1-line block ×6, first 2 shown]
	ds_read_b32 v57, v62 offset:3520
	v_sub_f32_e32 v23, v0, v1
	v_fma_f32 v17, v17, 2.0, -v50
	v_fma_f32 v19, v19, 2.0, -v51
	v_fma_f32 v27, v27, 2.0, -v52
	v_fma_f32 v29, v29, 2.0, -v53
	v_fma_f32 v31, v31, 2.0, -v54
	s_waitcnt lgkmcnt(0)
	s_barrier
	buffer_gl0_inv
	ds_write2_b32 v68, v30, v2 offset1:2
	ds_write2_b32 v69, v32, v3 offset1:2
	;; [unrolled: 1-line block ×10, first 2 shown]
	s_and_saveexec_b32 s1, s0
	s_cbranch_execz .LBB0_27
; %bb.26:
	v_and_or_b32 v1, 0x3fc, v65, v33
	v_fma_f32 v0, v0, 2.0, -v23
	v_lshl_add_u32 v1, v1, 2, 0
	ds_write2_b32 v1, v0, v23 offset1:2
.LBB0_27:
	s_or_b32 exec_lo, exec_lo, s1
	v_and_b32_e32 v69, 3, v66
	s_waitcnt lgkmcnt(0)
	s_barrier
	buffer_gl0_inv
	v_and_b32_e32 v74, 0xff, v66
	v_lshlrev_b32_e32 v0, 4, v69
	v_and_b32_e32 v75, 0xff, v67
	v_lshrrev_b32_e32 v71, 2, v67
	v_lshrrev_b32_e32 v72, 2, v58
	v_mul_lo_u16 v74, 0xab, v74
	global_load_dwordx4 v[0:3], v0, s[8:9] offset:16
	v_lshrrev_b32_e32 v64, 2, v64
	v_lshrrev_b32_e32 v61, 2, v61
	;; [unrolled: 1-line block ×3, first 2 shown]
	v_lshrrev_b16 v106, 11, v74
	v_lshrrev_b32_e32 v73, 2, v59
	ds_read_b32 v46, v62
	ds_read_b32 v68, v16
	ds_read2_b32 v[32:33], v22 offset0:104 offset1:148
	ds_read2_b32 v[30:31], v37 offset0:96 offset1:140
	;; [unrolled: 1-line block ×6, first 2 shown]
	ds_read_b32 v50, v34
	ds_read_b32 v49, v47
	;; [unrolled: 1-line block ×6, first 2 shown]
	ds_read_b32 v65, v62 offset:3520
	v_lshrrev_b32_e32 v70, 2, v66
	v_mul_lo_u16 v75, 0xab, v75
	v_mul_lo_u16 v74, v106, 12
	v_mul_lo_u32 v71, v71, 12
	v_mul_lo_u32 v72, v72, 12
	;; [unrolled: 1-line block ×6, first 2 shown]
	v_mov_b32_e32 v59, 6
	v_and_b32_e32 v76, 0xff, v58
	v_mul_u32_u24_e32 v70, 12, v70
	v_lshrrev_b16 v107, 11, v75
	v_sub_nc_u16 v109, v66, v74
	v_or_b32_e32 v71, v71, v69
	v_mul_lo_u16 v76, 0xab, v76
	v_or_b32_e32 v70, v70, v69
	v_or_b32_e32 v72, v72, v69
	;; [unrolled: 1-line block ×6, first 2 shown]
	v_mul_lo_u16 v73, v107, 12
	v_mul_u32_u24_sdwa v74, v109, v59 dst_sel:DWORD dst_unused:UNUSED_PAD src0_sel:BYTE_0 src1_sel:DWORD
	v_lshrrev_b16 v108, 11, v76
	v_lshl_add_u32 v70, v70, 2, 0
	v_add_nc_u32_e32 v56, 0x600, v62
	v_sub_nc_u16 v110, v67, v73
	v_lshlrev_b32_e32 v73, 3, v74
	v_lshl_add_u32 v71, v71, 2, 0
	v_add_nc_u32_e32 v53, 0xa00, v62
	v_lshl_add_u32 v72, v72, 2, 0
	v_add_nc_u32_e32 v54, 0x200, v62
	s_waitcnt vmcnt(0) lgkmcnt(0)
	s_barrier
	buffer_gl0_inv
	v_lshl_add_u32 v64, v64, 2, 0
	v_lshl_add_u32 v61, v61, 2, 0
	;; [unrolled: 1-line block ×4, first 2 shown]
	v_cmp_gt_u32_e64 s0, 40, v66
	v_mul_f32_e32 v74, v68, v1
	v_mul_f32_e32 v75, v55, v1
	;; [unrolled: 1-line block ×28, first 2 shown]
	v_fmac_f32_e32 v76, v14, v2
	v_fma_f32 v14, v32, v2, -v77
	v_fmac_f32_e32 v84, v10, v2
	v_fmac_f32_e32 v74, v55, v0
	v_fma_f32 v10, v68, v0, -v75
	v_fmac_f32_e32 v80, v15, v2
	v_fma_f32 v15, v33, v2, -v81
	;; [unrolled: 2-line block ×6, first 2 shown]
	v_fma_f32 v26, v29, v2, -v89
	v_fmac_f32_e32 v90, v9, v0
	v_fma_f32 v9, v27, v0, -v91
	v_fmac_f32_e32 v92, v6, v2
	;; [unrolled: 2-line block ×6, first 2 shown]
	v_fma_f32 v1, v65, v2, -v3
	v_add_f32_e32 v3, v74, v76
	v_sub_f32_e32 v5, v10, v14
	v_add_f32_e32 v16, v46, v10
	v_add_f32_e32 v10, v10, v14
	v_add_f32_e32 v19, v78, v80
	v_sub_f32_e32 v27, v12, v15
	v_add_f32_e32 v28, v52, v12
	v_add_f32_e32 v12, v12, v15
	;; [unrolled: 4-line block ×3, first 2 shown]
	v_add_f32_e32 v65, v86, v88
	v_add_f32_e32 v2, v39, v74
	v_sub_f32_e32 v17, v74, v76
	v_add_f32_e32 v18, v45, v78
	v_sub_f32_e32 v29, v78, v80
	;; [unrolled: 2-line block ×3, first 2 shown]
	v_add_f32_e32 v74, v50, v8
	v_add_f32_e32 v8, v8, v26
	v_sub_f32_e32 v75, v86, v88
	v_add_f32_e32 v78, v90, v92
	v_sub_f32_e32 v79, v9, v6
	v_add_f32_e32 v81, v49, v9
	v_add_f32_e32 v9, v9, v6
	;; [unrolled: 1-line block ×4, first 2 shown]
	v_sub_f32_e32 v86, v4, v7
	v_add_f32_e32 v87, v48, v4
	v_add_f32_e32 v4, v4, v7
	v_sub_f32_e32 v89, v94, v96
	v_add_f32_e32 v91, v98, v99
	v_sub_f32_e32 v93, v0, v1
	v_add_f32_e32 v94, v47, v0
	v_add_f32_e32 v0, v0, v1
	v_fmac_f32_e32 v39, -0.5, v3
	v_fmac_f32_e32 v46, -0.5, v10
	;; [unrolled: 1-line block ×4, first 2 shown]
	v_add_f32_e32 v30, v44, v82
	v_sub_f32_e32 v55, v82, v84
	v_fmac_f32_e32 v44, -0.5, v31
	v_fmac_f32_e32 v51, -0.5, v13
	;; [unrolled: 1-line block ×3, first 2 shown]
	v_add_f32_e32 v77, v42, v90
	v_sub_f32_e32 v82, v90, v92
	v_add_f32_e32 v90, v40, v98
	v_sub_f32_e32 v95, v98, v99
	v_add_f32_e32 v2, v2, v76
	v_add_f32_e32 v3, v16, v14
	v_fmac_f32_e32 v50, -0.5, v8
	v_fmac_f32_e32 v42, -0.5, v78
	;; [unrolled: 1-line block ×7, first 2 shown]
	v_fmamk_f32 v0, v5, 0xbf5db3d7, v39
	v_fmac_f32_e32 v39, 0x3f5db3d7, v5
	v_fmamk_f32 v5, v17, 0x3f5db3d7, v46
	v_fmac_f32_e32 v46, 0xbf5db3d7, v17
	v_add_f32_e32 v10, v18, v80
	v_add_f32_e32 v14, v28, v15
	v_fmamk_f32 v16, v27, 0xbf5db3d7, v45
	v_fmamk_f32 v17, v29, 0x3f5db3d7, v52
	v_fmac_f32_e32 v45, 0x3f5db3d7, v27
	v_fmac_f32_e32 v52, 0xbf5db3d7, v29
	v_add_f32_e32 v12, v30, v84
	v_add_f32_e32 v11, v33, v11
	;; [unrolled: 1-line block ×4, first 2 shown]
	v_fmamk_f32 v18, v32, 0xbf5db3d7, v44
	v_fmamk_f32 v26, v55, 0x3f5db3d7, v51
	;; [unrolled: 1-line block ×3, first 2 shown]
	v_add_f32_e32 v13, v57, v88
	v_add_f32_e32 v8, v77, v92
	;; [unrolled: 1-line block ×6, first 2 shown]
	v_fmac_f32_e32 v44, 0x3f5db3d7, v32
	v_fmac_f32_e32 v51, 0xbf5db3d7, v55
	;; [unrolled: 1-line block ×3, first 2 shown]
	v_fmamk_f32 v27, v75, 0x3f5db3d7, v50
	v_fmac_f32_e32 v50, 0xbf5db3d7, v75
	v_fmamk_f32 v28, v79, 0xbf5db3d7, v42
	v_fmac_f32_e32 v42, 0x3f5db3d7, v79
	;; [unrolled: 2-line block ×7, first 2 shown]
	ds_write2_b32 v70, v2, v0 offset1:4
	ds_write_b32 v70, v39 offset:32
	ds_write2_b32 v71, v10, v16 offset1:4
	ds_write_b32 v71, v45 offset:32
	ds_write2_b32 v72, v12, v18 offset1:4
	ds_write_b32 v72, v44 offset:32
	ds_write2_b32 v64, v13, v19 offset1:4
	ds_write_b32 v64, v43 offset:32
	ds_write2_b32 v61, v8, v28 offset1:4
	ds_write_b32 v61, v42 offset:32
	ds_write2_b32 v60, v9, v30 offset1:4
	ds_write_b32 v60, v41 offset:32
	ds_write2_b32 v69, v4, v32 offset1:4
	ds_write_b32 v69, v40 offset:32
	s_waitcnt lgkmcnt(0)
	s_barrier
	buffer_gl0_inv
	ds_read2_b32 v[92:93], v62 offset1:176
	ds_read_b32 v55, v36
	ds_read2_b32 v[94:95], v56 offset0:100 offset1:144
	ds_read2_b32 v[18:19], v22 offset0:148 offset1:192
	;; [unrolled: 1-line block ×3, first 2 shown]
	ds_read_b32 v68, v63
	ds_read2_b32 v[98:99], v54 offset0:92 offset1:180
	ds_read2_b32 v[100:101], v37 offset0:96 offset1:184
	;; [unrolled: 1-line block ×4, first 2 shown]
	ds_read_b32 v57, v35
	ds_read_b32 v65, v34
	;; [unrolled: 1-line block ×3, first 2 shown]
	s_waitcnt lgkmcnt(0)
	s_barrier
	buffer_gl0_inv
	ds_write2_b32 v70, v3, v5 offset1:4
	ds_write_b32 v70, v46 offset:32
	ds_write2_b32 v71, v14, v17 offset1:4
	ds_write_b32 v71, v52 offset:32
	ds_write2_b32 v72, v11, v26 offset1:4
	ds_write_b32 v72, v51 offset:32
	ds_write2_b32 v64, v15, v27 offset1:4
	ds_write_b32 v64, v50 offset:32
	ds_write2_b32 v61, v6, v29 offset1:4
	ds_write_b32 v61, v49 offset:32
	ds_write2_b32 v60, v7, v31 offset1:4
	ds_write_b32 v60, v48 offset:32
	ds_write2_b32 v69, v1, v33 offset1:4
	ds_write_b32 v69, v47 offset:32
	v_mul_lo_u16 v1, v108, 12
	v_mul_u32_u24_sdwa v0, v110, v59 dst_sel:DWORD dst_unused:UNUSED_PAD src0_sel:BYTE_0 src1_sel:DWORD
	s_waitcnt lgkmcnt(0)
	s_barrier
	buffer_gl0_inv
	v_sub_nc_u16 v1, v58, v1
	v_lshlrev_b32_e32 v0, 3, v0
	s_clause 0x2
	global_load_dwordx4 v[26:29], v73, s[8:9] offset:80
	global_load_dwordx4 v[30:33], v73, s[8:9] offset:96
	;; [unrolled: 1-line block ×3, first 2 shown]
	v_mul_u32_u24_sdwa v2, v1, v59 dst_sel:DWORD dst_unused:UNUSED_PAD src0_sel:BYTE_0 src1_sel:DWORD
	s_clause 0x1
	global_load_dwordx4 v[46:49], v0, s[8:9] offset:80
	global_load_dwordx4 v[72:75], v0, s[8:9] offset:96
	v_lshlrev_b32_e32 v2, 3, v2
	s_clause 0x3
	global_load_dwordx4 v[76:79], v0, s[8:9] offset:112
	global_load_dwordx4 v[80:83], v2, s[8:9] offset:80
	;; [unrolled: 1-line block ×4, first 2 shown]
	v_mov_b32_e32 v0, 0x150
	v_mov_b32_e32 v2, 2
	ds_read_b32 v58, v34
	ds_read_b32 v59, v35
	;; [unrolled: 1-line block ×3, first 2 shown]
	v_mul_u32_u24_sdwa v3, v106, v0 dst_sel:DWORD dst_unused:UNUSED_PAD src0_sel:WORD_0 src1_sel:DWORD
	v_mul_u32_u24_sdwa v4, v107, v0 dst_sel:DWORD dst_unused:UNUSED_PAD src0_sel:WORD_0 src1_sel:DWORD
	;; [unrolled: 1-line block ×3, first 2 shown]
	v_lshlrev_b32_sdwa v5, v2, v109 dst_sel:DWORD dst_unused:UNUSED_PAD src0_sel:DWORD src1_sel:BYTE_0
	v_lshlrev_b32_sdwa v6, v2, v110 dst_sel:DWORD dst_unused:UNUSED_PAD src0_sel:DWORD src1_sel:BYTE_0
	;; [unrolled: 1-line block ×3, first 2 shown]
	ds_read2_b32 v[35:36], v56 offset0:100 offset1:144
	v_add3_u32 v3, 0, v3, v5
	v_add3_u32 v4, 0, v4, v6
	;; [unrolled: 1-line block ×3, first 2 shown]
	ds_read2_b32 v[50:51], v22 offset0:148 offset1:192
	ds_read2_b32 v[0:1], v62 offset1:176
	ds_read2_b32 v[106:107], v53 offset0:108 offset1:152
	ds_read_b32 v6, v63
	ds_read2_b32 v[108:109], v54 offset0:92 offset1:180
	ds_read2_b32 v[110:111], v37 offset0:96 offset1:184
	ds_read_b32 v5, v20
	ds_read2_b32 v[112:113], v22 offset0:60 offset1:104
	ds_read2_b32 v[114:115], v38 offset0:68 offset1:112
	s_waitcnt vmcnt(0) lgkmcnt(0)
	s_barrier
	buffer_gl0_inv
	v_mul_f32_e32 v40, v58, v27
	v_mul_f32_e32 v39, v59, v29
	;; [unrolled: 1-line block ×27, first 2 shown]
	v_fmac_f32_e32 v40, v65, v26
	v_fmac_f32_e32 v39, v57, v28
	;; [unrolled: 1-line block ×4, first 2 shown]
	v_mul_f32_e32 v15, v111, v73
	v_mul_f32_e32 v77, v98, v81
	;; [unrolled: 1-line block ×9, first 2 shown]
	v_fma_f32 v69, v59, v28, -v27
	v_fmac_f32_e32 v41, v55, v30
	v_fma_f32 v64, v60, v30, -v29
	v_fmac_f32_e32 v52, v95, v32
	v_fma_f32 v70, v36, v32, -v31
	v_fma_f32 v71, v50, v42, -v33
	v_fmac_f32_e32 v14, v93, v46
	v_fmac_f32_e32 v13, v99, v48
	;; [unrolled: 1-line block ×4, first 2 shown]
	v_fma_f32 v65, v58, v26, -v20
	v_fma_f32 v73, v107, v44, -v38
	;; [unrolled: 1-line block ×8, first 2 shown]
	v_fmac_f32_e32 v8, v98, v80
	v_fmac_f32_e32 v7, v100, v82
	;; [unrolled: 1-line block ×4, first 2 shown]
	v_add_f32_e32 v20, v40, v54
	v_add_f32_e32 v27, v39, v53
	v_fmac_f32_e32 v15, v101, v72
	v_fmac_f32_e32 v16, v102, v74
	v_fma_f32 v18, v108, v80, -v77
	v_fma_f32 v19, v110, v82, -v79
	v_fma_f32 v1, v35, v84, -v81
	v_fma_f32 v35, v113, v86, -v83
	v_fma_f32 v36, v106, v88, -v85
	v_fma_f32 v38, v115, v90, -v87
	v_sub_f32_e32 v28, v69, v71
	v_add_f32_e32 v29, v41, v52
	v_sub_f32_e32 v30, v70, v64
	v_add_f32_e32 v31, v14, v34
	v_add_f32_e32 v33, v13, v17
	v_fmac_f32_e32 v9, v94, v84
	v_fmac_f32_e32 v10, v103, v86
	v_sub_f32_e32 v26, v65, v73
	v_sub_f32_e32 v32, v57, v61
	;; [unrolled: 1-line block ×4, first 2 shown]
	v_add_f32_e32 v45, v8, v12
	v_add_f32_e32 v47, v7, v11
	;; [unrolled: 1-line block ×4, first 2 shown]
	v_sub_f32_e32 v46, v18, v38
	v_sub_f32_e32 v48, v19, v36
	v_sub_f32_e32 v50, v35, v1
	v_sub_f32_e32 v72, v27, v20
	v_sub_f32_e32 v20, v20, v29
	v_sub_f32_e32 v27, v29, v27
	v_add_f32_e32 v74, v30, v28
	v_sub_f32_e32 v75, v30, v28
	v_add_f32_e32 v76, v33, v31
	v_add_f32_e32 v49, v9, v10
	v_sub_f32_e32 v28, v28, v26
	v_add_f32_e32 v78, v44, v42
	v_sub_f32_e32 v79, v44, v42
	v_sub_f32_e32 v42, v42, v32
	v_add_f32_e32 v80, v47, v45
	v_add_f32_e32 v29, v29, v51
	v_sub_f32_e32 v77, v33, v31
	v_sub_f32_e32 v31, v31, v43
	;; [unrolled: 1-line block ×3, first 2 shown]
	v_add_f32_e32 v82, v50, v48
	v_sub_f32_e32 v83, v50, v48
	v_sub_f32_e32 v48, v48, v46
	;; [unrolled: 1-line block ×3, first 2 shown]
	v_add_f32_e32 v51, v74, v26
	v_mul_f32_e32 v20, 0x3f4a47b2, v20
	v_mul_f32_e32 v26, 0x3d64c772, v27
	;; [unrolled: 1-line block ×3, first 2 shown]
	v_add_f32_e32 v43, v43, v76
	v_sub_f32_e32 v44, v32, v44
	v_sub_f32_e32 v81, v47, v45
	;; [unrolled: 1-line block ×4, first 2 shown]
	v_mul_f32_e32 v75, 0xbf5ff5aa, v28
	v_add_f32_e32 v32, v78, v32
	v_mul_f32_e32 v78, 0x3f08b237, v79
	v_mul_f32_e32 v79, 0xbf5ff5aa, v42
	v_add_f32_e32 v49, v49, v80
	v_add_f32_e32 v84, v92, v29
	v_sub_f32_e32 v50, v46, v50
	v_mul_f32_e32 v31, 0x3f4a47b2, v31
	v_mul_f32_e32 v76, 0x3d64c772, v33
	v_add_f32_e32 v46, v82, v46
	v_mul_f32_e32 v82, 0x3f08b237, v83
	v_mul_f32_e32 v83, 0xbf5ff5aa, v48
	v_fmamk_f32 v27, v27, 0x3d64c772, v20
	v_fma_f32 v85, 0x3f3bfb3b, v72, -v26
	v_fma_f32 v20, 0xbf3bfb3b, v72, -v20
	v_fmamk_f32 v72, v30, 0xbeae86e6, v74
	v_fma_f32 v28, 0xbf5ff5aa, v28, -v74
	v_add_f32_e32 v74, v68, v43
	v_mul_f32_e32 v45, 0x3f4a47b2, v45
	v_mul_f32_e32 v80, 0x3d64c772, v47
	v_fma_f32 v30, 0x3eae86e6, v30, -v75
	v_fmamk_f32 v75, v44, 0xbeae86e6, v78
	v_fma_f32 v42, 0xbf5ff5aa, v42, -v78
	v_fma_f32 v44, 0x3eae86e6, v44, -v79
	v_add_f32_e32 v26, v116, v49
	v_fmamk_f32 v29, v29, 0xbf955555, v84
	v_fmamk_f32 v33, v33, 0x3d64c772, v31
	v_fma_f32 v68, 0x3f3bfb3b, v77, -v76
	v_fma_f32 v31, 0xbf3bfb3b, v77, -v31
	v_fmamk_f32 v77, v50, 0xbeae86e6, v82
	v_fma_f32 v48, 0xbf5ff5aa, v48, -v82
	v_fma_f32 v50, 0x3eae86e6, v50, -v83
	v_fmamk_f32 v43, v43, 0xbf955555, v74
	v_fmamk_f32 v47, v47, 0x3d64c772, v45
	v_fma_f32 v76, 0x3f3bfb3b, v81, -v80
	v_fma_f32 v45, 0xbf3bfb3b, v81, -v45
	v_fmac_f32_e32 v72, 0xbee1c552, v51
	v_fmac_f32_e32 v75, 0xbee1c552, v32
	;; [unrolled: 1-line block ×4, first 2 shown]
	v_fmamk_f32 v32, v49, 0xbf955555, v26
	v_add_f32_e32 v27, v27, v29
	v_fmac_f32_e32 v28, 0xbee1c552, v51
	v_fmac_f32_e32 v30, 0xbee1c552, v51
	;; [unrolled: 1-line block ×5, first 2 shown]
	v_add_f32_e32 v46, v85, v29
	v_add_f32_e32 v20, v20, v29
	;; [unrolled: 1-line block ×10, first 2 shown]
	v_sub_f32_e32 v76, v46, v28
	v_add_f32_e32 v46, v28, v46
	v_sub_f32_e32 v78, v20, v30
	v_sub_f32_e32 v72, v27, v72
	v_add_f32_e32 v79, v75, v29
	v_add_f32_e32 v80, v44, v31
	v_sub_f32_e32 v81, v33, v42
	v_add_f32_e32 v68, v42, v33
	v_sub_f32_e32 v32, v31, v44
	v_sub_f32_e32 v33, v29, v75
	v_add_f32_e32 v27, v77, v43
	v_add_f32_e32 v30, v50, v45
	v_sub_f32_e32 v31, v47, v48
	v_add_f32_e32 v28, v48, v47
	v_sub_f32_e32 v29, v45, v50
	v_sub_f32_e32 v20, v43, v77
	ds_write2_b32 v3, v84, v49 offset1:12
	ds_write2_b32 v3, v51, v76 offset0:24 offset1:36
	ds_write2_b32 v3, v46, v78 offset0:48 offset1:60
	ds_write_b32 v3, v72 offset:288
	ds_write2_b32 v4, v74, v79 offset1:12
	ds_write2_b32 v4, v80, v81 offset0:24 offset1:36
	ds_write2_b32 v4, v68, v32 offset0:48 offset1:60
	ds_write_b32 v4, v33 offset:288
	;; [unrolled: 4-line block ×3, first 2 shown]
	s_waitcnt lgkmcnt(0)
	s_barrier
	buffer_gl0_inv
	ds_read2_b32 v[42:43], v62 offset1:84
	ds_read2_b32 v[48:49], v62 offset0:168 offset1:252
	ds_read2_b32 v[44:45], v37 offset0:80 offset1:164
	;; [unrolled: 1-line block ×4, first 2 shown]
	ds_read_b32 v72, v62 offset:3360
	s_and_saveexec_b32 s1, s0
	s_cbranch_execz .LBB0_29
; %bb.28:
	v_add_nc_u32_e32 v20, 0x400, v62
	v_add_nc_u32_e32 v21, 0x800, v62
	;; [unrolled: 1-line block ×3, first 2 shown]
	ds_read_b32 v68, v63
	ds_read2_b32 v[32:33], v62 offset0:128 offset1:212
	ds_read2_b32 v[26:27], v20 offset0:40 offset1:124
	;; [unrolled: 1-line block ×5, first 2 shown]
.LBB0_29:
	s_or_b32 exec_lo, exec_lo, s1
	v_add_f32_e32 v22, v65, v73
	v_add_f32_e32 v37, v69, v71
	v_sub_f32_e32 v40, v40, v54
	v_add_f32_e32 v54, v64, v70
	v_sub_f32_e32 v39, v39, v53
	v_sub_f32_e32 v41, v52, v41
	v_add_f32_e32 v52, v37, v22
	v_sub_f32_e32 v53, v37, v22
	v_sub_f32_e32 v22, v22, v54
	;; [unrolled: 1-line block ×3, first 2 shown]
	v_add_f32_e32 v64, v41, v39
	v_add_f32_e32 v52, v54, v52
	v_sub_f32_e32 v54, v41, v39
	v_sub_f32_e32 v41, v40, v41
	v_sub_f32_e32 v39, v39, v40
	v_add_f32_e32 v40, v64, v40
	v_add_f32_e32 v0, v0, v52
	v_mul_f32_e32 v64, 0x3d64c772, v37
	v_mul_f32_e32 v54, 0x3f08b237, v54
	;; [unrolled: 1-line block ×4, first 2 shown]
	v_fmamk_f32 v52, v52, 0xbf955555, v0
	v_fma_f32 v64, 0x3f3bfb3b, v53, -v64
	v_fma_f32 v39, 0xbf5ff5aa, v39, -v54
	v_fmamk_f32 v37, v37, 0x3d64c772, v22
	v_fma_f32 v22, 0xbf3bfb3b, v53, -v22
	v_fmamk_f32 v53, v41, 0xbeae86e6, v54
	v_fma_f32 v41, 0x3eae86e6, v41, -v65
	v_add_f32_e32 v54, v64, v52
	v_fmac_f32_e32 v39, 0xbee1c552, v40
	v_sub_f32_e32 v14, v14, v34
	v_fmac_f32_e32 v53, 0xbee1c552, v40
	v_fmac_f32_e32 v41, 0xbee1c552, v40
	v_add_f32_e32 v40, v58, v60
	v_add_f32_e32 v65, v39, v54
	v_sub_f32_e32 v54, v54, v39
	v_add_f32_e32 v39, v57, v61
	v_add_f32_e32 v34, v55, v59
	v_sub_f32_e32 v13, v13, v17
	v_sub_f32_e32 v15, v16, v15
	;; [unrolled: 1-line block ×3, first 2 shown]
	v_add_f32_e32 v16, v40, v39
	v_sub_f32_e32 v17, v40, v39
	v_sub_f32_e32 v39, v39, v34
	;; [unrolled: 1-line block ×3, first 2 shown]
	v_add_f32_e32 v55, v15, v13
	v_add_f32_e32 v16, v34, v16
	v_sub_f32_e32 v34, v15, v13
	v_sub_f32_e32 v15, v14, v15
	;; [unrolled: 1-line block ×3, first 2 shown]
	v_add_f32_e32 v14, v55, v14
	v_add_f32_e32 v6, v6, v16
	v_mul_f32_e32 v55, 0x3d64c772, v40
	v_mul_f32_e32 v34, 0x3f08b237, v34
	;; [unrolled: 1-line block ×4, first 2 shown]
	v_fmamk_f32 v16, v16, 0xbf955555, v6
	v_fma_f32 v55, 0x3f3bfb3b, v17, -v55
	v_fma_f32 v13, 0xbf5ff5aa, v13, -v34
	v_fmamk_f32 v40, v40, 0x3d64c772, v39
	v_fma_f32 v17, 0xbf3bfb3b, v17, -v39
	v_fmamk_f32 v39, v15, 0xbeae86e6, v34
	v_add_f32_e32 v34, v55, v16
	v_fmac_f32_e32 v13, 0xbee1c552, v14
	v_add_f32_e32 v1, v1, v35
	v_sub_f32_e32 v7, v7, v11
	v_sub_f32_e32 v9, v10, v9
	v_add_f32_e32 v37, v37, v52
	v_add_f32_e32 v58, v13, v34
	v_sub_f32_e32 v69, v34, v13
	v_add_f32_e32 v13, v18, v38
	v_add_f32_e32 v18, v19, v36
	v_fma_f32 v15, 0x3eae86e6, v15, -v57
	v_add_f32_e32 v22, v22, v52
	v_add_f32_e32 v57, v40, v16
	v_sub_f32_e32 v12, v13, v1
	v_add_f32_e32 v10, v18, v13
	v_sub_f32_e32 v11, v18, v13
	v_sub_f32_e32 v13, v1, v18
	v_add_f32_e32 v18, v9, v7
	v_fmac_f32_e32 v39, 0xbee1c552, v14
	v_add_f32_e32 v1, v1, v10
	v_sub_f32_e32 v10, v9, v7
	v_sub_f32_e32 v7, v7, v8
	;; [unrolled: 1-line block ×3, first 2 shown]
	v_add_f32_e32 v8, v18, v8
	v_add_f32_e32 v34, v5, v1
	v_mul_f32_e32 v5, 0x3f4a47b2, v12
	v_mul_f32_e32 v12, 0x3d64c772, v13
	;; [unrolled: 1-line block ×4, first 2 shown]
	v_fmamk_f32 v1, v1, 0xbf955555, v34
	v_fmamk_f32 v13, v13, 0x3d64c772, v5
	v_fma_f32 v12, 0x3f3bfb3b, v11, -v12
	v_fma_f32 v5, 0xbf3bfb3b, v11, -v5
	v_fmamk_f32 v11, v9, 0xbeae86e6, v10
	v_fma_f32 v7, 0xbf5ff5aa, v7, -v10
	v_fma_f32 v9, 0x3eae86e6, v9, -v18
	v_sub_f32_e32 v52, v37, v53
	v_add_f32_e32 v16, v17, v16
	v_fmac_f32_e32 v15, 0xbee1c552, v14
	v_add_f32_e32 v10, v13, v1
	v_add_f32_e32 v12, v12, v1
	;; [unrolled: 1-line block ×3, first 2 shown]
	v_fmac_f32_e32 v11, 0xbee1c552, v8
	v_fmac_f32_e32 v9, 0xbee1c552, v8
	;; [unrolled: 1-line block ×3, first 2 shown]
	v_sub_f32_e32 v64, v22, v41
	v_add_f32_e32 v14, v41, v22
	v_add_f32_e32 v17, v53, v37
	v_sub_f32_e32 v53, v57, v39
	v_sub_f32_e32 v55, v16, v15
	v_add_f32_e32 v40, v15, v16
	v_add_f32_e32 v41, v39, v57
	v_sub_f32_e32 v35, v10, v11
	v_sub_f32_e32 v38, v1, v9
	v_add_f32_e32 v39, v7, v12
	v_sub_f32_e32 v36, v12, v7
	v_add_f32_e32 v37, v9, v1
	v_add_f32_e32 v22, v11, v10
	s_waitcnt lgkmcnt(0)
	s_barrier
	buffer_gl0_inv
	ds_write2_b32 v3, v0, v52 offset1:12
	ds_write2_b32 v3, v64, v65 offset0:24 offset1:36
	ds_write2_b32 v3, v54, v14 offset0:48 offset1:60
	ds_write_b32 v3, v17 offset:288
	ds_write2_b32 v4, v6, v53 offset1:12
	ds_write2_b32 v4, v55, v58 offset0:24 offset1:36
	ds_write2_b32 v4, v69, v40 offset0:48 offset1:60
	ds_write_b32 v4, v41 offset:288
	ds_write2_b32 v2, v34, v35 offset1:12
	ds_write2_b32 v2, v38, v39 offset0:24 offset1:36
	ds_write2_b32 v2, v36, v37 offset0:48 offset1:60
	ds_write_b32 v2, v22 offset:288
	v_add_nc_u32_e32 v0, 0x400, v62
	v_add_nc_u32_e32 v1, 0x800, v62
	s_waitcnt lgkmcnt(0)
	s_barrier
	buffer_gl0_inv
	ds_read2_b32 v[52:53], v62 offset1:84
	ds_read2_b32 v[58:59], v62 offset0:168 offset1:252
	ds_read2_b32 v[54:55], v0 offset0:80 offset1:164
	;; [unrolled: 1-line block ×4, first 2 shown]
	ds_read_b32 v73, v62 offset:3360
	s_and_saveexec_b32 s1, s0
	s_cbranch_execz .LBB0_31
; %bb.30:
	v_add_nc_u32_e32 v2, 0x600, v62
	v_add_nc_u32_e32 v3, 0xc00, v62
	ds_read_b32 v69, v63
	ds_read2_b32 v[40:41], v62 offset0:128 offset1:212
	ds_read2_b32 v[34:35], v0 offset0:40 offset1:124
	;; [unrolled: 1-line block ×5, first 2 shown]
.LBB0_31:
	s_or_b32 exec_lo, exec_lo, s1
	s_and_saveexec_b32 s1, vcc_lo
	s_cbranch_execz .LBB0_34
; %bb.32:
	v_mul_u32_u24_e32 v0, 10, v66
	v_add_nc_u32_e32 v82, 0x54, v66
	v_add_nc_u32_e32 v83, 0xa8, v66
	v_mad_u64_u32 v[64:65], null, s2, v66, 0
	v_lshlrev_b32_e32 v0, 3, v0
	v_mad_u64_u32 v[76:77], null, s2, v82, 0
	v_mad_u64_u32 v[78:79], null, s2, v83, 0
	s_clause 0x4
	global_load_dwordx4 v[12:15], v0, s[8:9] offset:656
	global_load_dwordx4 v[16:19], v0, s[8:9] offset:720
	;; [unrolled: 1-line block ×5, first 2 shown]
	v_mad_u64_u32 v[80:81], null, s3, v66, v[65:66]
	v_add_nc_u32_e32 v84, 0xfc, v66
	v_mov_b32_e32 v65, v77
	v_add_nc_u32_e32 v75, 0x150, v66
	v_mov_b32_e32 v77, v79
	v_add_co_u32 v70, vcc_lo, s12, v24
	v_mad_u64_u32 v[81:82], null, s3, v82, v[65:66]
	v_mad_u64_u32 v[82:83], null, s3, v83, v[77:78]
	;; [unrolled: 1-line block ×3, first 2 shown]
	v_add_co_ci_u32_e32 v71, vcc_lo, s13, v25, vcc_lo
	v_mad_u64_u32 v[24:25], null, s2, v75, 0
	v_mov_b32_e32 v77, v81
	v_mov_b32_e32 v79, v82
	v_mad_u64_u32 v[83:84], null, s3, v84, v[63:64]
	v_mov_b32_e32 v65, v80
	v_add_nc_u32_e32 v74, 0x1a4, v66
	v_mad_u64_u32 v[80:81], null, s3, v75, v[25:26]
	v_lshlrev_b64 v[75:76], 3, v[76:77]
	v_lshlrev_b64 v[77:78], 3, v[78:79]
	v_mov_b32_e32 v63, v83
	v_lshlrev_b64 v[64:65], 3, v[64:65]
	v_mad_u64_u32 v[84:85], null, s2, v74, 0
	v_add_co_u32 v64, vcc_lo, v70, v64
	v_add_co_ci_u32_e32 v65, vcc_lo, v71, v65, vcc_lo
	v_add_co_u32 v75, vcc_lo, v70, v75
	v_add_co_ci_u32_e32 v76, vcc_lo, v71, v76, vcc_lo
	s_waitcnt vmcnt(4) lgkmcnt(5)
	v_mul_f32_e32 v25, v53, v13
	s_waitcnt vmcnt(3) lgkmcnt(0)
	v_mul_f32_e32 v79, v73, v19
	v_mul_f32_e32 v19, v72, v19
	;; [unrolled: 1-line block ×7, first 2 shown]
	s_waitcnt vmcnt(2)
	v_mul_f32_e32 v83, v59, v5
	s_waitcnt vmcnt(1)
	v_mul_f32_e32 v86, v60, v11
	v_mul_f32_e32 v11, v50, v11
	;; [unrolled: 1-line block ×7, first 2 shown]
	s_waitcnt vmcnt(0)
	v_mul_f32_e32 v89, v55, v1
	v_mul_f32_e32 v90, v56, v3
	v_mul_f32_e32 v3, v46, v3
	v_mul_f32_e32 v1, v45, v1
	v_fmac_f32_e32 v25, v43, v12
	v_fmac_f32_e32 v79, v72, v18
	v_fma_f32 v18, v73, v18, -v19
	v_fma_f32 v12, v53, v12, -v13
	v_fmac_f32_e32 v81, v48, v14
	v_fmac_f32_e32 v82, v51, v16
	v_fma_f32 v16, v61, v16, -v17
	v_fma_f32 v13, v58, v14, -v15
	;; [unrolled: 4-line block ×5, first 2 shown]
	v_sub_f32_e32 v1, v25, v79
	v_add_f32_e32 v3, v12, v18
	v_add_f32_e32 v43, v25, v79
	v_sub_f32_e32 v44, v12, v18
	v_add_f32_e32 v12, v52, v12
	v_add_f32_e32 v25, v42, v25
	v_sub_f32_e32 v7, v81, v82
	v_add_f32_e32 v8, v13, v16
	v_sub_f32_e32 v9, v83, v86
	v_sub_f32_e32 v14, v87, v88
	;; [unrolled: 1-line block ×7, first 2 shown]
	v_mul_f32_e32 v54, 0xbf0a6770, v1
	v_mul_f32_e32 v59, 0xbf0a6770, v44
	;; [unrolled: 1-line block ×9, first 2 shown]
	v_add_f32_e32 v12, v12, v13
	v_add_f32_e32 v13, v25, v81
	;; [unrolled: 1-line block ×9, first 2 shown]
	v_mul_f32_e32 v55, 0xbf68dda4, v7
	v_mul_f32_e32 v56, 0xbf7d64f0, v9
	;; [unrolled: 1-line block ×41, first 2 shown]
	v_fmamk_f32 v119, v3, 0x3f575c64, v54
	v_fma_f32 v123, 0x3f575c64, v43, -v59
	v_fmamk_f32 v124, v3, 0x3ed4b147, v60
	v_fma_f32 v128, 0x3ed4b147, v43, -v92
	;; [unrolled: 2-line block ×3, first 2 shown]
	v_fmamk_f32 v134, v3, 0xbf27a4f4, v99
	v_fmamk_f32 v135, v3, 0xbf75a155, v1
	v_fma_f32 v1, 0xbf75a155, v3, -v1
	v_fma_f32 v99, 0xbf27a4f4, v3, -v99
	;; [unrolled: 1-line block ×6, first 2 shown]
	v_add_f32_e32 v4, v12, v4
	v_add_f32_e32 v12, v13, v83
	v_fmamk_f32 v120, v8, 0x3ed4b147, v55
	v_fmamk_f32 v121, v11, 0xbe11bafb, v56
	;; [unrolled: 1-line block ×10, first 2 shown]
	v_fma_f32 v137, 0xbf75a155, v43, -v44
	v_fmac_f32_e32 v44, 0xbf75a155, v43
	v_fmac_f32_e32 v104, 0xbf27a4f4, v43
	;; [unrolled: 1-line block ×5, first 2 shown]
	v_fmamk_f32 v43, v11, 0x3f575c64, v101
	v_fmamk_f32 v138, v15, 0xbf75a155, v102
	;; [unrolled: 1-line block ×3, first 2 shown]
	v_fma_f32 v7, 0x3f575c64, v8, -v7
	v_fma_f32 v100, 0xbe11bafb, v8, -v100
	v_fma_f32 v94, 0xbf75a155, v8, -v94
	v_fma_f32 v61, 0xbf27a4f4, v8, -v61
	v_fma_f32 v8, 0x3ed4b147, v8, -v55
	v_fmamk_f32 v55, v11, 0xbf27a4f4, v9
	v_fma_f32 v9, 0xbf27a4f4, v11, -v9
	v_fma_f32 v101, 0x3f575c64, v11, -v101
	v_fma_f32 v95, 0x3ed4b147, v11, -v95
	v_fma_f32 v72, 0xbf75a155, v11, -v72
	v_fma_f32 v11, 0xbe11bafb, v11, -v56
	v_fmamk_f32 v56, v15, 0x3ed4b147, v14
	;; [unrolled: 6-line block ×3, first 2 shown]
	v_fma_f32 v17, 0xbe11bafb, v19, -v17
	v_fmamk_f32 v140, v19, 0x3ed4b147, v103
	v_fma_f32 v103, 0x3ed4b147, v19, -v103
	v_fmamk_f32 v141, v19, 0xbf27a4f4, v97
	;; [unrolled: 2-line block ×4, first 2 shown]
	v_fma_f32 v58, 0xbf75a155, v19, -v58
	v_fma_f32 v19, 0x3f575c64, v46, -v25
	v_fmac_f32_e32 v25, 0x3f575c64, v46
	v_fma_f32 v144, 0xbe11bafb, v46, -v105
	v_fmac_f32_e32 v105, 0xbe11bafb, v46
	;; [unrolled: 2-line block ×20, first 2 shown]
	v_add_f32_e32 v53, v52, v119
	v_add_f32_e32 v119, v52, v124
	v_add_f32_e32 v124, v52, v129
	v_add_f32_e32 v129, v52, v134
	v_add_f32_e32 v134, v52, v135
	v_add_f32_e32 v1, v52, v1
	v_add_f32_e32 v99, v52, v99
	v_add_f32_e32 v93, v52, v93
	v_add_f32_e32 v60, v52, v60
	v_add_f32_e32 v3, v52, v3
	v_add_f32_e32 v52, v42, v123
	v_add_f32_e32 v123, v42, v128
	v_add_f32_e32 v128, v42, v133
	v_add_f32_e32 v133, v42, v136
	v_add_f32_e32 v4, v4, v6
	v_add_f32_e32 v6, v12, v87
	v_add_f32_e32 v135, v42, v137
	v_add_f32_e32 v44, v42, v44
	v_add_f32_e32 v104, v42, v104
	v_add_f32_e32 v98, v42, v98
	v_add_f32_e32 v92, v42, v92
	v_add_f32_e32 v42, v42, v59
	v_add_f32_e32 v12, v53, v120
	v_add_f32_e32 v52, v52, v147
	v_add_f32_e32 v53, v119, v125
	v_add_f32_e32 v59, v123, v146
	v_add_f32_e32 v87, v124, v130
	v_add_f32_e32 v119, v128, v145
	v_add_f32_e32 v54, v129, v54
	v_add_f32_e32 v120, v133, v144
	v_add_f32_e32 v123, v134, v139
	v_add_f32_e32 v3, v3, v8
	v_add_f32_e32 v0, v4, v0
	v_add_f32_e32 v4, v6, v89
	v_add_f32_e32 v19, v135, v19
	v_add_f32_e32 v8, v42, v81
	v_add_f32_e32 v6, v12, v121
	v_add_f32_e32 v12, v52, v151
	v_add_f32_e32 v42, v53, v126
	v_add_f32_e32 v52, v59, v150
	v_add_f32_e32 v53, v87, v131
	v_add_f32_e32 v59, v119, v149
	v_add_f32_e32 v43, v54, v43
	v_add_f32_e32 v54, v120, v148
	v_add_f32_e32 v55, v123, v55
	v_add_f32_e32 v3, v3, v11
	v_add_f32_e32 v0, v0, v2
	v_add_f32_e32 v2, v4, v90
	v_add_f32_e32 v1, v1, v7
	v_add_f32_e32 v19, v19, v46
	v_add_f32_e32 v4, v6, v122
	v_add_f32_e32 v6, v12, v155
	v_add_f32_e32 v11, v42, v127
	v_add_f32_e32 v12, v52, v154
	v_add_f32_e32 v42, v53, v132
	v_add_f32_e32 v52, v59, v153
	v_add_f32_e32 v53, v54, v152
	v_add_f32_e32 v54, v55, v56
	v_add_f32_e32 v55, v3, v15
	v_add_f32_e32 v15, v5, v0
	v_add_f32_e32 v59, v88, v2
	v_add_f32_e32 v1, v1, v9
	v_add_f32_e32 v8, v8, v107
	v_add_f32_e32 v19, v19, v48
	v_add_f32_e32 v2, v12, v156
	v_add_f32_e32 v12, v10, v15
	v_add_f32_e32 v15, v86, v59
	v_add_f32_e32 v7, v44, v25
	v_add_f32_e32 v25, v99, v100
	v_add_f32_e32 v44, v104, v105
	v_add_f32_e32 v93, v93, v94
	v_add_f32_e32 v60, v60, v61
	v_add_f32_e32 v61, v92, v106
	v_add_f32_e32 v14, v1, v14
	v_add_f32_e32 v56, v8, v111
	v_add_f32_e32 v8, v19, v13
	v_add_f32_e32 v16, v16, v12
	v_add_f32_e32 v19, v82, v15
	v_add_f32_e32 v7, v7, v47
	v_add_f32_e32 v9, v25, v101
	v_add_f32_e32 v25, v44, v110
	v_add_f32_e32 v44, v93, v95
	v_add_f32_e32 v43, v43, v138
	v_add_f32_e32 v46, v60, v72
	v_add_f32_e32 v47, v61, v108
	v_add_f32_e32 v3, v11, v142
	v_add_f32_e32 v11, v14, v17
	v_add_f32_e32 v17, v18, v16
	v_add_f32_e32 v16, v79, v19
	v_add_f32_e32 v48, v7, v49
	v_add_f32_e32 v44, v44, v96
	v_add_f32_e32 v5, v42, v141
	v_add_f32_e32 v7, v43, v140
	v_add_f32_e32 v43, v55, v58
	v_add_f32_e32 v42, v56, v115
	v_add_f32_e32 v46, v46, v73
	v_add_f32_e32 v47, v47, v112
	v_add_f32_e32 v25, v25, v114
	global_store_dwordx2 v[64:65], v[16:17], off
	v_add_co_u32 v16, vcc_lo, v70, v77
	v_add_f32_e32 v15, v44, v97
	global_store_dwordx2 v[75:76], v[42:43], off
	v_lshlrev_b64 v[43:44], 3, v[62:63]
	v_add_f32_e32 v19, v46, v91
	v_add_f32_e32 v18, v47, v116
	v_add_co_ci_u32_e32 v17, vcc_lo, v71, v78, vcc_lo
	v_mov_b32_e32 v42, v85
	v_add_f32_e32 v45, v98, v45
	v_add_f32_e32 v12, v25, v51
	v_mov_b32_e32 v25, v80
	global_store_dwordx2 v[16:17], v[18:19], off
	v_mad_u64_u32 v[18:19], null, s3, v74, v[42:43]
	v_add_f32_e32 v45, v45, v109
	v_lshlrev_b64 v[16:17], 3, v[24:25]
	v_add_nc_u32_e32 v42, 0x1f8, v66
	v_add_f32_e32 v49, v9, v102
	v_add_co_u32 v24, vcc_lo, v70, v43
	v_add_f32_e32 v45, v45, v113
	v_add_co_ci_u32_e32 v25, vcc_lo, v71, v44, vcc_lo
	v_mov_b32_e32 v85, v18
	v_mad_u64_u32 v[18:19], null, s2, v42, 0
	v_add_co_u32 v16, vcc_lo, v70, v16
	v_add_f32_e32 v13, v49, v103
	v_add_f32_e32 v14, v45, v118
	v_add_co_ci_u32_e32 v17, vcc_lo, v71, v17, vcc_lo
	v_add_nc_u32_e32 v43, 0x24c, v66
	v_add_nc_u32_e32 v45, 0x2a0, v66
	global_store_dwordx2 v[24:25], v[14:15], off
	global_store_dwordx2 v[16:17], v[12:13], off
	v_mov_b32_e32 v16, v19
	v_mad_u64_u32 v[14:15], null, s2, v43, 0
	v_mad_u64_u32 v[24:25], null, s2, v45, 0
	;; [unrolled: 1-line block ×3, first 2 shown]
	v_lshlrev_b64 v[12:13], 3, v[84:85]
	v_add_nc_u32_e32 v47, 0x2f4, v66
	v_add_f32_e32 v10, v48, v117
	v_add_nc_u32_e32 v48, 0x348, v66
	v_add_f32_e32 v9, v54, v57
	v_add_f32_e32 v0, v6, v157
	v_mad_u64_u32 v[42:43], null, s3, v43, v[15:16]
	v_add_co_u32 v12, vcc_lo, v70, v12
	v_mov_b32_e32 v15, v25
	v_mad_u64_u32 v[43:44], null, s2, v47, 0
	v_add_co_ci_u32_e32 v13, vcc_lo, v71, v13, vcc_lo
	v_mov_b32_e32 v19, v16
	v_mad_u64_u32 v[45:46], null, s3, v45, v[15:16]
	v_mad_u64_u32 v[16:17], null, s2, v48, 0
	global_store_dwordx2 v[12:13], v[10:11], off
	v_lshlrev_b64 v[11:12], 3, v[18:19]
	v_mov_b32_e32 v10, v44
	v_mov_b32_e32 v15, v42
	;; [unrolled: 1-line block ×3, first 2 shown]
	v_add_f32_e32 v6, v53, v50
	v_add_f32_e32 v1, v4, v143
	v_mad_u64_u32 v[18:19], null, s3, v47, v[10:11]
	v_mov_b32_e32 v10, v17
	v_add_co_u32 v11, vcc_lo, v70, v11
	v_lshlrev_b64 v[13:14], 3, v[14:15]
	v_lshlrev_b64 v[24:25], 3, v[24:25]
	v_add_co_ci_u32_e32 v12, vcc_lo, v71, v12, vcc_lo
	v_mad_u64_u32 v[45:46], null, s3, v48, v[10:11]
	v_mov_b32_e32 v44, v18
	v_add_co_u32 v13, vcc_lo, v70, v13
	v_add_co_ci_u32_e32 v14, vcc_lo, v71, v14, vcc_lo
	v_lshlrev_b64 v[18:19], 3, v[43:44]
	v_mov_b32_e32 v17, v45
	v_add_co_u32 v24, vcc_lo, v70, v24
	v_add_co_ci_u32_e32 v25, vcc_lo, v71, v25, vcc_lo
	v_lshlrev_b64 v[15:16], 3, v[16:17]
	v_add_co_u32 v17, vcc_lo, v70, v18
	v_add_co_ci_u32_e32 v18, vcc_lo, v71, v19, vcc_lo
	v_add_f32_e32 v4, v52, v83
	v_add_co_u32 v15, vcc_lo, v70, v15
	v_add_co_ci_u32_e32 v16, vcc_lo, v71, v16, vcc_lo
	global_store_dwordx2 v[11:12], v[8:9], off
	global_store_dwordx2 v[13:14], v[6:7], off
	;; [unrolled: 1-line block ×5, first 2 shown]
	s_and_b32 exec_lo, exec_lo, s0
	s_cbranch_execz .LBB0_34
; %bb.33:
	v_subrev_nc_u32_e32 v0, 40, v66
	v_mov_b32_e32 v1, 0
	v_add_nc_u32_e32 v52, 44, v66
	v_or_b32_e32 v54, 0x80, v66
	v_add_nc_u32_e32 v55, 0xd4, v66
	v_cndmask_b32_e64 v0, v0, v67, s0
	v_add_nc_u32_e32 v56, 0x128, v66
	v_add_nc_u32_e32 v57, 0x17c, v66
	v_mad_u64_u32 v[24:25], null, s2, v52, 0
	v_mul_i32_i24_e32 v0, 10, v0
	v_add_nc_u32_e32 v58, 0x1d0, v66
	v_mad_u64_u32 v[42:43], null, s2, v54, 0
	v_mad_u64_u32 v[44:45], null, s2, v55, 0
	v_lshlrev_b64 v[0:1], 3, v[0:1]
	v_mad_u64_u32 v[46:47], null, s2, v56, 0
	v_mad_u64_u32 v[48:49], null, s2, v57, 0
	;; [unrolled: 1-line block ×3, first 2 shown]
	v_add_co_u32 v0, vcc_lo, s8, v0
	v_add_co_ci_u32_e32 v1, vcc_lo, s9, v1, vcc_lo
	v_mad_u64_u32 v[52:53], null, s3, v52, v[25:26]
	s_clause 0x4
	global_load_dwordx4 v[8:11], v[0:1], off offset:656
	global_load_dwordx4 v[12:15], v[0:1], off offset:672
	;; [unrolled: 1-line block ×5, first 2 shown]
	v_mad_u64_u32 v[53:54], null, s3, v54, v[43:44]
	v_mad_u64_u32 v[54:55], null, s3, v55, v[45:46]
	;; [unrolled: 1-line block ×5, first 2 shown]
	v_mov_b32_e32 v25, v52
	v_mov_b32_e32 v43, v53
	;; [unrolled: 1-line block ×5, first 2 shown]
	v_lshlrev_b64 v[24:25], 3, v[24:25]
	v_lshlrev_b64 v[42:43], 3, v[42:43]
	;; [unrolled: 1-line block ×5, first 2 shown]
	v_add_co_u32 v24, vcc_lo, v70, v24
	v_add_co_ci_u32_e32 v25, vcc_lo, v71, v25, vcc_lo
	v_add_co_u32 v42, vcc_lo, v70, v42
	v_add_co_ci_u32_e32 v43, vcc_lo, v71, v43, vcc_lo
	;; [unrolled: 2-line block ×3, first 2 shown]
	s_waitcnt vmcnt(4)
	v_mul_f32_e32 v51, v40, v9
	v_mul_f32_e32 v9, v32, v9
	;; [unrolled: 1-line block ×4, first 2 shown]
	s_waitcnt vmcnt(3)
	v_mul_f32_e32 v53, v34, v13
	v_mul_f32_e32 v13, v26, v13
	;; [unrolled: 1-line block ×4, first 2 shown]
	s_waitcnt vmcnt(2)
	v_mul_f32_e32 v55, v38, v17
	v_mul_f32_e32 v17, v30, v17
	s_waitcnt vmcnt(0)
	v_mul_f32_e32 v60, v22, v1
	v_mul_f32_e32 v1, v20, v1
	;; [unrolled: 1-line block ×4, first 2 shown]
	v_fmac_f32_e32 v51, v32, v8
	v_fma_f32 v8, v40, v8, -v9
	v_mul_f32_e32 v56, v39, v19
	v_mul_f32_e32 v19, v31, v19
	;; [unrolled: 1-line block ×6, first 2 shown]
	v_fmac_f32_e32 v52, v33, v10
	v_fma_f32 v9, v41, v10, -v11
	v_fmac_f32_e32 v53, v26, v12
	v_fma_f32 v10, v34, v12, -v13
	;; [unrolled: 2-line block ×3, first 2 shown]
	v_fma_f32 v12, v38, v16, -v17
	v_fmac_f32_e32 v60, v20, v0
	v_fma_f32 v17, v23, v2, -v3
	v_fma_f32 v14, v22, v0, -v1
	v_add_f32_e32 v0, v68, v51
	v_add_f32_e32 v1, v69, v8
	v_fma_f32 v13, v39, v18, -v19
	v_fmac_f32_e32 v58, v28, v4
	v_fma_f32 v4, v36, v4, -v5
	v_fma_f32 v5, v37, v6, -v7
	v_fmac_f32_e32 v61, v21, v2
	v_add_f32_e32 v3, v8, v17
	v_sub_f32_e32 v7, v8, v17
	v_add_f32_e32 v0, v0, v52
	v_add_f32_e32 v1, v1, v9
	v_fmac_f32_e32 v55, v30, v16
	v_fmac_f32_e32 v56, v31, v18
	;; [unrolled: 1-line block ×3, first 2 shown]
	v_add_f32_e32 v2, v51, v61
	v_sub_f32_e32 v6, v51, v61
	v_add_f32_e32 v15, v9, v14
	v_sub_f32_e32 v18, v9, v14
	;; [unrolled: 2-line block ×5, first 2 shown]
	v_mul_f32_e32 v9, 0xbf0a6770, v7
	v_mul_f32_e32 v33, 0x3f575c64, v3
	;; [unrolled: 1-line block ×8, first 2 shown]
	v_add_f32_e32 v0, v0, v53
	v_add_f32_e32 v1, v1, v10
	;; [unrolled: 1-line block ×3, first 2 shown]
	v_sub_f32_e32 v16, v52, v60
	v_add_f32_e32 v19, v53, v59
	v_sub_f32_e32 v21, v53, v59
	v_add_f32_e32 v23, v54, v58
	;; [unrolled: 2-line block ×3, first 2 shown]
	v_sub_f32_e32 v31, v55, v56
	v_mul_f32_e32 v7, 0xbe903f40, v7
	v_mul_f32_e32 v3, 0xbf75a155, v3
	;; [unrolled: 1-line block ×42, first 2 shown]
	v_fmamk_f32 v10, v2, 0x3f575c64, v9
	v_fmamk_f32 v53, v6, 0x3f0a6770, v33
	v_fma_f32 v9, 0x3f575c64, v2, -v9
	v_fmac_f32_e32 v33, 0xbf0a6770, v6
	v_fmamk_f32 v95, v2, 0x3ed4b147, v34
	v_fmamk_f32 v96, v6, 0x3f68dda4, v35
	v_fma_f32 v34, 0x3ed4b147, v2, -v34
	v_fmac_f32_e32 v35, 0xbf68dda4, v6
	;; [unrolled: 4-line block ×3, first 2 shown]
	v_fmamk_f32 v99, v2, 0xbf27a4f4, v38
	v_fmamk_f32 v100, v6, 0x3f4178ce, v39
	v_fma_f32 v38, 0xbf27a4f4, v2, -v38
	v_add_f32_e32 v0, v0, v54
	v_add_f32_e32 v1, v1, v11
	v_fmac_f32_e32 v39, 0xbf4178ce, v6
	v_fmamk_f32 v101, v2, 0xbf75a155, v7
	v_fmamk_f32 v102, v6, 0x3e903f40, v3
	v_fma_f32 v2, 0xbf75a155, v2, -v7
	v_fmac_f32_e32 v3, 0xbe903f40, v6
	v_fmamk_f32 v6, v8, 0x3ed4b147, v40
	v_fmamk_f32 v7, v16, 0x3f68dda4, v41
	v_fma_f32 v40, 0x3ed4b147, v8, -v40
	v_fmac_f32_e32 v41, 0xbf68dda4, v16
	v_fmamk_f32 v103, v8, 0xbf27a4f4, v51
	v_fmamk_f32 v104, v16, 0x3f4178ce, v52
	v_fma_f32 v51, 0xbf27a4f4, v8, -v51
	v_fmac_f32_e32 v52, 0xbf4178ce, v16
	v_fmamk_f32 v105, v8, 0xbf75a155, v62
	v_fmamk_f32 v106, v16, 0xbe903f40, v63
	v_fma_f32 v62, 0xbf75a155, v8, -v62
	v_fmac_f32_e32 v63, 0x3e903f40, v16
	v_fmamk_f32 v107, v8, 0xbe11bafb, v64
	v_fmamk_f32 v108, v16, 0xbf7d64f0, v65
	v_fma_f32 v64, 0xbe11bafb, v8, -v64
	v_fmac_f32_e32 v65, 0x3f7d64f0, v16
	v_fmamk_f32 v109, v8, 0x3f575c64, v18
	v_fmamk_f32 v110, v16, 0xbf0a6770, v15
	v_fma_f32 v8, 0x3f575c64, v8, -v18
	v_fmac_f32_e32 v15, 0x3f0a6770, v16
	v_fmamk_f32 v16, v19, 0xbe11bafb, v67
	v_fmamk_f32 v18, v21, 0x3f7d64f0, v72
	v_fma_f32 v67, 0xbe11bafb, v19, -v67
	v_fmac_f32_e32 v72, 0xbf7d64f0, v21
	v_fmamk_f32 v111, v19, 0xbf75a155, v73
	v_fmamk_f32 v112, v21, 0xbe903f40, v74
	v_fma_f32 v73, 0xbf75a155, v19, -v73
	v_fmac_f32_e32 v74, 0x3e903f40, v21
	v_fmamk_f32 v113, v19, 0x3ed4b147, v75
	v_fmamk_f32 v114, v21, 0xbf68dda4, v76
	v_fma_f32 v75, 0x3ed4b147, v19, -v75
	v_fmac_f32_e32 v76, 0x3f68dda4, v21
	v_fmamk_f32 v115, v19, 0x3f575c64, v77
	v_fmamk_f32 v116, v21, 0x3f0a6770, v78
	v_fma_f32 v77, 0x3f575c64, v19, -v77
	v_fmac_f32_e32 v78, 0xbf0a6770, v21
	v_fmamk_f32 v117, v19, 0xbf27a4f4, v22
	v_fmamk_f32 v118, v21, 0x3f4178ce, v20
	v_fma_f32 v19, 0xbf27a4f4, v19, -v22
	v_fmac_f32_e32 v20, 0xbf4178ce, v21
	v_fmamk_f32 v21, v23, 0xbf27a4f4, v79
	v_fmamk_f32 v22, v27, 0x3f4178ce, v80
	v_fma_f32 v79, 0xbf27a4f4, v23, -v79
	v_fmac_f32_e32 v80, 0xbf4178ce, v27
	v_fmamk_f32 v119, v23, 0xbe11bafb, v81
	v_fmamk_f32 v120, v27, 0xbf7d64f0, v82
	v_fma_f32 v81, 0xbe11bafb, v23, -v81
	v_fmac_f32_e32 v82, 0x3f7d64f0, v27
	v_fmamk_f32 v121, v23, 0x3f575c64, v83
	v_fmamk_f32 v122, v27, 0x3f0a6770, v84
	v_fma_f32 v83, 0x3f575c64, v23, -v83
	v_fmac_f32_e32 v84, 0xbf0a6770, v27
	v_fmamk_f32 v123, v23, 0xbf75a155, v85
	v_fmamk_f32 v124, v27, 0x3e903f40, v86
	v_fma_f32 v85, 0xbf75a155, v23, -v85
	v_fmac_f32_e32 v86, 0xbe903f40, v27
	v_fmamk_f32 v125, v23, 0x3ed4b147, v28
	v_fmamk_f32 v126, v27, 0xbf68dda4, v26
	v_fma_f32 v23, 0x3ed4b147, v23, -v28
	v_fmac_f32_e32 v26, 0x3f68dda4, v27
	v_fmamk_f32 v27, v29, 0xbf75a155, v87
	v_fmamk_f32 v28, v31, 0x3e903f40, v88
	v_fma_f32 v87, 0xbf75a155, v29, -v87
	v_fmac_f32_e32 v88, 0xbe903f40, v31
	v_fmamk_f32 v127, v29, 0x3f575c64, v89
	v_fmamk_f32 v128, v31, 0xbf0a6770, v90
	v_fma_f32 v89, 0x3f575c64, v29, -v89
	v_fmac_f32_e32 v90, 0x3f0a6770, v31
	v_fmamk_f32 v129, v29, 0xbf27a4f4, v91
	v_fmamk_f32 v130, v31, 0x3f4178ce, v92
	v_fma_f32 v91, 0xbf27a4f4, v29, -v91
	v_fmac_f32_e32 v92, 0xbf4178ce, v31
	v_fmamk_f32 v131, v29, 0x3ed4b147, v93
	v_fmamk_f32 v132, v31, 0xbf68dda4, v94
	v_fma_f32 v93, 0x3ed4b147, v29, -v93
	v_fmac_f32_e32 v94, 0x3f68dda4, v31
	v_fmamk_f32 v133, v29, 0xbe11bafb, v32
	v_fmamk_f32 v134, v31, 0x3f7d64f0, v30
	v_fma_f32 v29, 0xbe11bafb, v29, -v32
	v_fmac_f32_e32 v30, 0xbf7d64f0, v31
	v_add_f32_e32 v10, v68, v10
	v_add_f32_e32 v11, v69, v53
	;; [unrolled: 1-line block ×91, first 2 shown]
	v_add_nc_u32_e32 v22, 0x224, v66
	v_add_f32_e32 v19, v123, v32
	v_add_f32_e32 v23, v23, v2
	global_store_dwordx2 v[24:25], v[16:17], off
	global_store_dwordx2 v[42:43], v[0:1], off
	;; [unrolled: 1-line block ×3, first 2 shown]
	v_add_co_u32 v0, vcc_lo, v70, v46
	v_add_f32_e32 v97, v68, v101
	v_add_co_ci_u32_e32 v1, vcc_lo, v71, v47, vcc_lo
	v_add_co_u32 v4, vcc_lo, v70, v48
	v_add_f32_e32 v51, v110, v98
	v_mad_u64_u32 v[16:17], null, s2, v22, 0
	v_add_f32_e32 v26, v26, v3
	v_add_f32_e32 v2, v87, v7
	;; [unrolled: 1-line block ×8, first 2 shown]
	v_add_co_ci_u32_e32 v5, vcc_lo, v71, v49, vcc_lo
	v_add_nc_u32_e32 v23, 0x278, v66
	v_add_f32_e32 v41, v109, v97
	v_add_f32_e32 v37, v118, v51
	v_mov_b32_e32 v51, v57
	global_store_dwordx2 v[0:1], v[8:9], off
	global_store_dwordx2 v[4:5], v[12:13], off
	v_mad_u64_u32 v[4:5], null, s2, v23, 0
	v_add_f32_e32 v36, v117, v41
	v_mov_b32_e32 v8, v17
	v_lshlrev_b64 v[0:1], 3, v[50:51]
	v_add_nc_u32_e32 v25, 0x2cc, v66
	v_add_nc_u32_e32 v27, 0x320, v66
	v_add_f32_e32 v31, v125, v36
	v_add_f32_e32 v32, v126, v37
	v_mad_u64_u32 v[8:9], null, s3, v22, v[8:9]
	v_mad_u64_u32 v[22:23], null, s3, v23, v[5:6]
	;; [unrolled: 1-line block ×4, first 2 shown]
	v_add_co_u32 v0, vcc_lo, v70, v0
	v_add_nc_u32_e32 v28, 0x374, v66
	v_add_f32_e32 v18, v133, v31
	v_add_f32_e32 v19, v134, v32
	v_add_co_ci_u32_e32 v1, vcc_lo, v71, v1, vcc_lo
	v_mov_b32_e32 v17, v8
	v_mad_u64_u32 v[8:9], null, s2, v28, 0
	v_mov_b32_e32 v5, v13
	global_store_dwordx2 v[0:1], v[18:19], off
	v_mov_b32_e32 v0, v24
	v_add_f32_e32 v14, v93, v21
	v_add_f32_e32 v21, v30, v26
	v_mad_u64_u32 v[25:26], null, s3, v25, v[5:6]
	v_mad_u64_u32 v[0:1], null, s3, v27, v[0:1]
	v_mov_b32_e32 v1, v9
	v_mov_b32_e32 v5, v22
	v_lshlrev_b64 v[16:17], 3, v[16:17]
	v_mov_b32_e32 v13, v25
	v_mad_u64_u32 v[18:19], null, s3, v28, v[1:2]
	v_lshlrev_b64 v[4:5], 3, v[4:5]
	v_add_co_u32 v16, vcc_lo, v70, v16
	v_mov_b32_e32 v24, v0
	v_add_co_ci_u32_e32 v17, vcc_lo, v71, v17, vcc_lo
	v_lshlrev_b64 v[12:13], 3, v[12:13]
	v_add_co_u32 v0, vcc_lo, v70, v4
	v_mov_b32_e32 v9, v18
	v_add_co_ci_u32_e32 v1, vcc_lo, v71, v5, vcc_lo
	v_lshlrev_b64 v[4:5], 3, v[23:24]
	v_add_co_u32 v12, vcc_lo, v70, v12
	v_lshlrev_b64 v[8:9], 3, v[8:9]
	v_add_co_ci_u32_e32 v13, vcc_lo, v71, v13, vcc_lo
	v_add_co_u32 v4, vcc_lo, v70, v4
	v_add_co_ci_u32_e32 v5, vcc_lo, v71, v5, vcc_lo
	v_add_co_u32 v8, vcc_lo, v70, v8
	v_add_co_ci_u32_e32 v9, vcc_lo, v71, v9, vcc_lo
	global_store_dwordx2 v[16:17], v[20:21], off
	global_store_dwordx2 v[0:1], v[14:15], off
	;; [unrolled: 1-line block ×5, first 2 shown]
.LBB0_34:
	s_endpgm
	.section	.rodata,"a",@progbits
	.p2align	6, 0x0
	.amdhsa_kernel fft_rtc_back_len924_factors_2_2_3_7_11_wgs_44_tpt_44_halfLds_sp_ip_CI_sbrr_dirReg
		.amdhsa_group_segment_fixed_size 0
		.amdhsa_private_segment_fixed_size 0
		.amdhsa_kernarg_size 88
		.amdhsa_user_sgpr_count 6
		.amdhsa_user_sgpr_private_segment_buffer 1
		.amdhsa_user_sgpr_dispatch_ptr 0
		.amdhsa_user_sgpr_queue_ptr 0
		.amdhsa_user_sgpr_kernarg_segment_ptr 1
		.amdhsa_user_sgpr_dispatch_id 0
		.amdhsa_user_sgpr_flat_scratch_init 0
		.amdhsa_user_sgpr_private_segment_size 0
		.amdhsa_wavefront_size32 1
		.amdhsa_uses_dynamic_stack 0
		.amdhsa_system_sgpr_private_segment_wavefront_offset 0
		.amdhsa_system_sgpr_workgroup_id_x 1
		.amdhsa_system_sgpr_workgroup_id_y 0
		.amdhsa_system_sgpr_workgroup_id_z 0
		.amdhsa_system_sgpr_workgroup_info 0
		.amdhsa_system_vgpr_workitem_id 0
		.amdhsa_next_free_vgpr 158
		.amdhsa_next_free_sgpr 23
		.amdhsa_reserve_vcc 1
		.amdhsa_reserve_flat_scratch 0
		.amdhsa_float_round_mode_32 0
		.amdhsa_float_round_mode_16_64 0
		.amdhsa_float_denorm_mode_32 3
		.amdhsa_float_denorm_mode_16_64 3
		.amdhsa_dx10_clamp 1
		.amdhsa_ieee_mode 1
		.amdhsa_fp16_overflow 0
		.amdhsa_workgroup_processor_mode 1
		.amdhsa_memory_ordered 1
		.amdhsa_forward_progress 0
		.amdhsa_shared_vgpr_count 0
		.amdhsa_exception_fp_ieee_invalid_op 0
		.amdhsa_exception_fp_denorm_src 0
		.amdhsa_exception_fp_ieee_div_zero 0
		.amdhsa_exception_fp_ieee_overflow 0
		.amdhsa_exception_fp_ieee_underflow 0
		.amdhsa_exception_fp_ieee_inexact 0
		.amdhsa_exception_int_div_zero 0
	.end_amdhsa_kernel
	.text
.Lfunc_end0:
	.size	fft_rtc_back_len924_factors_2_2_3_7_11_wgs_44_tpt_44_halfLds_sp_ip_CI_sbrr_dirReg, .Lfunc_end0-fft_rtc_back_len924_factors_2_2_3_7_11_wgs_44_tpt_44_halfLds_sp_ip_CI_sbrr_dirReg
                                        ; -- End function
	.section	.AMDGPU.csdata,"",@progbits
; Kernel info:
; codeLenInByte = 14944
; NumSgprs: 25
; NumVgprs: 158
; ScratchSize: 0
; MemoryBound: 0
; FloatMode: 240
; IeeeMode: 1
; LDSByteSize: 0 bytes/workgroup (compile time only)
; SGPRBlocks: 3
; VGPRBlocks: 19
; NumSGPRsForWavesPerEU: 25
; NumVGPRsForWavesPerEU: 158
; Occupancy: 6
; WaveLimiterHint : 1
; COMPUTE_PGM_RSRC2:SCRATCH_EN: 0
; COMPUTE_PGM_RSRC2:USER_SGPR: 6
; COMPUTE_PGM_RSRC2:TRAP_HANDLER: 0
; COMPUTE_PGM_RSRC2:TGID_X_EN: 1
; COMPUTE_PGM_RSRC2:TGID_Y_EN: 0
; COMPUTE_PGM_RSRC2:TGID_Z_EN: 0
; COMPUTE_PGM_RSRC2:TIDIG_COMP_CNT: 0
	.text
	.p2alignl 6, 3214868480
	.fill 48, 4, 3214868480
	.type	__hip_cuid_2ddba76b2c880a16,@object ; @__hip_cuid_2ddba76b2c880a16
	.section	.bss,"aw",@nobits
	.globl	__hip_cuid_2ddba76b2c880a16
__hip_cuid_2ddba76b2c880a16:
	.byte	0                               ; 0x0
	.size	__hip_cuid_2ddba76b2c880a16, 1

	.ident	"AMD clang version 19.0.0git (https://github.com/RadeonOpenCompute/llvm-project roc-6.4.0 25133 c7fe45cf4b819c5991fe208aaa96edf142730f1d)"
	.section	".note.GNU-stack","",@progbits
	.addrsig
	.addrsig_sym __hip_cuid_2ddba76b2c880a16
	.amdgpu_metadata
---
amdhsa.kernels:
  - .args:
      - .actual_access:  read_only
        .address_space:  global
        .offset:         0
        .size:           8
        .value_kind:     global_buffer
      - .offset:         8
        .size:           8
        .value_kind:     by_value
      - .actual_access:  read_only
        .address_space:  global
        .offset:         16
        .size:           8
        .value_kind:     global_buffer
      - .actual_access:  read_only
        .address_space:  global
        .offset:         24
        .size:           8
        .value_kind:     global_buffer
      - .offset:         32
        .size:           8
        .value_kind:     by_value
      - .actual_access:  read_only
        .address_space:  global
        .offset:         40
        .size:           8
        .value_kind:     global_buffer
      - .actual_access:  read_only
        .address_space:  global
        .offset:         48
        .size:           8
        .value_kind:     global_buffer
      - .offset:         56
        .size:           4
        .value_kind:     by_value
      - .actual_access:  read_only
        .address_space:  global
        .offset:         64
        .size:           8
        .value_kind:     global_buffer
      - .actual_access:  read_only
        .address_space:  global
        .offset:         72
        .size:           8
        .value_kind:     global_buffer
      - .address_space:  global
        .offset:         80
        .size:           8
        .value_kind:     global_buffer
    .group_segment_fixed_size: 0
    .kernarg_segment_align: 8
    .kernarg_segment_size: 88
    .language:       OpenCL C
    .language_version:
      - 2
      - 0
    .max_flat_workgroup_size: 44
    .name:           fft_rtc_back_len924_factors_2_2_3_7_11_wgs_44_tpt_44_halfLds_sp_ip_CI_sbrr_dirReg
    .private_segment_fixed_size: 0
    .sgpr_count:     25
    .sgpr_spill_count: 0
    .symbol:         fft_rtc_back_len924_factors_2_2_3_7_11_wgs_44_tpt_44_halfLds_sp_ip_CI_sbrr_dirReg.kd
    .uniform_work_group_size: 1
    .uses_dynamic_stack: false
    .vgpr_count:     158
    .vgpr_spill_count: 0
    .wavefront_size: 32
    .workgroup_processor_mode: 1
amdhsa.target:   amdgcn-amd-amdhsa--gfx1030
amdhsa.version:
  - 1
  - 2
...

	.end_amdgpu_metadata
